;; amdgpu-corpus repo=ROCm/aiter kind=harvested arch=n/a opt=n/a

/root/src/amdgpu-assembly/repos/ROCm__aiter/hsa/gfx950/f4gemm/f4gemm_bf16_per1x32Fp4_BpreShuffle_224x128.co:	file format elf64-amdgpu

Disassembly of section .text:

0000000000002c00 <_ZN5aiter42f4gemm_bf16_per1x32Fp4_BpreShuffle_224x128E>:
	s_and_b32 s1, s1, 0xffff                                   // 000000002C00: 8601FF01 0000FFFF
	s_load_dwordx2 s[4:5], s[0:1], 0x0                         // 000000002C08: C0060100 00000000
	s_load_dwordx2 s[8:9], s[0:1], 0x10                        // 000000002C10: C0060200 00000010
	s_load_dwordx2 s[12:13], s[0:1], 0x20                      // 000000002C18: C0060300 00000020
	s_load_dwordx2 s[16:17], s[0:1], 0x30                      // 000000002C20: C0060400 00000030
	s_load_dword s41, s[0:1], 0x40                             // 000000002C28: C0020A40 00000040
	s_load_dword s42, s[0:1], 0x50                             // 000000002C30: C0020A80 00000050
	s_load_dword s36, s[0:1], 0x80                             // 000000002C38: C0020900 00000080
	s_load_dword s37, s[0:1], 0xa0                             // 000000002C40: C0020940 000000A0
	s_load_dword s38, s[0:1], 0xc0                             // 000000002C48: C0020980 000000C0
	s_load_dword s43, s[0:1], 0xe0                             // 000000002C50: C0020AC0 000000E0
	s_load_dword s44, s[0:1], 0xf0                             // 000000002C58: C0020B00 000000F0
	s_load_dword s45, s[0:1], 0x100                            // 000000002C60: C0020B40 00000100
	s_load_dwordx2 s[20:21], s[0:1], 0x110                     // 000000002C68: C0060500 00000110
	s_load_dwordx2 s[24:25], s[0:1], 0x120                     // 000000002C70: C0060600 00000120
	s_load_dword s39, s[0:1], 0x130                            // 000000002C78: C00209C0 00000130
	s_load_dword s40, s[0:1], 0x150                            // 000000002C80: C0020A00 00000150
	v_lshrrev_b32_e32 v1, 10, v0                               // 000000002C88: 2002008A
	v_lshrrev_b32_e32 v2, 10, v1                               // 000000002C8C: 2004028A
	v_and_b32_e32 v2, 0x3ff, v2                                // 000000002C90: 260404FF 000003FF
	v_and_b32_e32 v1, 0x3ff, v1                                // 000000002C98: 260202FF 000003FF
	v_and_b32_e32 v0, 0x3ff, v0                                // 000000002CA0: 260000FF 000003FF
	v_lshrrev_b32_e32 v3, 6, v0                                // 000000002CA8: 20060086
	v_and_b32_e32 v0, 63, v0                                   // 000000002CAC: 260000BF
	s_mov_b32 s47, s2                                          // 000000002CB0: BEAF0002
	s_mov_b32 s48, s3                                          // 000000002CB4: BEB00003
	v_readfirstlane_b32 s46, v3                                // 000000002CB8: 7E5C0503
	s_waitcnt lgkmcnt(0)                                       // 000000002CBC: BF8CC07F
	s_add_u32 s51, s44, 0x7f                                   // 000000002CC0: 8033FF2C 0000007F
	s_lshr_b32 s50, s51, 7                                     // 000000002CC8: 8F328733
	s_mul_i32 s49, s50, s48                                    // 000000002CCC: 92313032
	s_add_i32 s49, s49, s47                                    // 000000002CD0: 81312F31
	s_add_u32 s51, s43, 0xdf                                   // 000000002CD4: 8033FF2B 000000DF
	s_mov_b32 s63, 0xe0                                        // 000000002CDC: BEBF00FF 000000E0
	v_cvt_f32_u32_e32 v4, s63                                  // 000000002CE4: 7E080C3F
	s_sub_i32 s62, 0, s63                                      // 000000002CE8: 81BE3F80
	v_rcp_iflag_f32_e32 v4, v4                                 // 000000002CEC: 7E084704
	s_nop 0                                                    // 000000002CF0: BF800000
	v_mul_f32_e32 v4, 0x4f7ffffe, v4                           // 000000002CF4: 0A0808FF 4F7FFFFE
	v_cvt_u32_f32_e32 v4, v4                                   // 000000002CFC: 7E080F04
	v_mul_lo_u32 v5, s62, v4                                   // 000000002D00: D2850005 0002083E
	v_mul_hi_u32 v5, v4, v5                                    // 000000002D08: D2860005 00020B04
	v_add_u32_e32 v4, v4, v5                                   // 000000002D10: 68080B04
	v_mul_hi_u32 v4, s51, v4                                   // 000000002D14: D2860004 00020833
	v_mul_lo_u32 v5, v4, s63                                   // 000000002D1C: D2850005 00007F04
	v_sub_u32_e32 v7, s51, v5                                  // 000000002D24: 6A0E0A33
	v_add_u32_e32 v6, 1, v4                                    // 000000002D28: 680C0881
	v_cmp_le_u32_e32 vcc, s63, v7                              // 000000002D2C: 7D960E3F
	v_subrev_u32_e32 v5, s63, v7                               // 000000002D30: 6C0A0E3F
	s_nop 0                                                    // 000000002D34: BF800000
	v_cndmask_b32_e32 v4, v4, v6, vcc                          // 000000002D38: 00080D04
	v_cndmask_b32_e32 v7, v7, v5, vcc                          // 000000002D3C: 000E0B07
	v_add_u32_e32 v5, 1, v4                                    // 000000002D40: 680A0881
	v_cmp_le_u32_e32 vcc, s63, v7                              // 000000002D44: 7D960E3F
	s_nop 1                                                    // 000000002D48: BF800001
	v_cndmask_b32_e32 v7, v4, v5, vcc                          // 000000002D4C: 000E0B04
	s_nop 3                                                    // 000000002D50: BF800003
	v_readfirstlane_b32 s62, v7                                // 000000002D54: 7E7C0507
	s_nop 3                                                    // 000000002D58: BF800003
	s_lshl_b32 s62, s62, 5                                     // 000000002D5C: 8E3E853E
	s_mov_b32 s47, 0                                           // 000000002D60: BEAF0080

0000000000002d64 <label_0059>:
	s_cmp_lt_i32 s49, s62                                      // 000000002D64: BF043E31
	s_cbranch_scc1 label_005E                                  // 000000002D68: BF850003
	s_sub_i32 s49, s49, s62                                    // 000000002D6C: 81B13E31
	s_add_i32 s47, s47, 32                                     // 000000002D70: 812FA02F
	s_branch label_0059                                        // 000000002D74: BF82FFFB

0000000000002d78 <label_005E>:
	s_sub_i32 s50, s50, s47                                    // 000000002D78: 81B22F32
	s_cmp_lt_i32 s50, 32                                       // 000000002D7C: BF04A032
	s_cbranch_scc1 label_0064                                  // 000000002D80: BF850003
	s_lshr_b32 s48, s49, 5                                     // 000000002D84: 8F308531
	s_and_b32 s62, s49, 31                                     // 000000002D88: 863E9F31
	s_branch label_0084                                        // 000000002D8C: BF820020

0000000000002d90 <label_0064>:
	v_cvt_f32_u32_e32 v4, s50                                  // 000000002D90: 7E080C32
	s_sub_i32 s48, 0, s50                                      // 000000002D94: 81B03280
	v_rcp_iflag_f32_e32 v4, v4                                 // 000000002D98: 7E084704
	s_nop 0                                                    // 000000002D9C: BF800000
	v_mul_f32_e32 v4, 0x4f7ffffe, v4                           // 000000002DA0: 0A0808FF 4F7FFFFE
	v_cvt_u32_f32_e32 v4, v4                                   // 000000002DA8: 7E080F04
	v_mul_lo_u32 v5, s48, v4                                   // 000000002DAC: D2850005 00020830
	v_mul_hi_u32 v5, v4, v5                                    // 000000002DB4: D2860005 00020B04
	v_add_u32_e32 v4, v4, v5                                   // 000000002DBC: 68080B04
	v_mul_hi_u32 v4, s49, v4                                   // 000000002DC0: D2860004 00020831
	v_mul_lo_u32 v5, v4, s50                                   // 000000002DC8: D2850005 00006504
	v_sub_u32_e32 v7, s49, v5                                  // 000000002DD0: 6A0E0A31
	v_add_u32_e32 v6, 1, v4                                    // 000000002DD4: 680C0881
	v_cmp_le_u32_e32 vcc, s50, v7                              // 000000002DD8: 7D960E32
	v_subrev_u32_e32 v5, s50, v7                               // 000000002DDC: 6C0A0E32
	s_nop 0                                                    // 000000002DE0: BF800000
	v_cndmask_b32_e32 v4, v4, v6, vcc                          // 000000002DE4: 00080D04
	v_cndmask_b32_e32 v7, v7, v5, vcc                          // 000000002DE8: 000E0B07
	v_add_u32_e32 v5, 1, v4                                    // 000000002DEC: 680A0881
	v_cmp_le_u32_e32 vcc, s50, v7                              // 000000002DF0: 7D960E32
	s_nop 1                                                    // 000000002DF4: BF800001
	v_cndmask_b32_e32 v7, v4, v5, vcc                          // 000000002DF8: 000E0B04
	s_nop 3                                                    // 000000002DFC: BF800003
	v_readfirstlane_b32 s48, v7                                // 000000002E00: 7E600507
	s_nop 3                                                    // 000000002E04: BF800003
	s_mul_i32 s62, s50, s48                                    // 000000002E08: 923E3032
	s_sub_i32 s62, s49, s62                                    // 000000002E0C: 81BE3E31

0000000000002e10 <label_0084>:
	s_add_i32 s47, s62, s47                                    // 000000002E10: 812F2F3E
	s_lshr_b32 s37, s37, 1                                     // 000000002E14: 8F258125
	s_mul_i32 s62, s48, 0xe0                                   // 000000002E18: 923EFF30 000000E0
	s_mul_hi_u32 s63, s37, s62                                 // 000000002E20: 963F3E25
	s_add_u32 s13, s13, s63                                    // 000000002E24: 800D3F0D
	s_mul_i32 s63, s37, s62                                    // 000000002E28: 923F3E25
	s_add_u32 s12, s12, s63                                    // 000000002E2C: 800C3F0C
	s_addc_u32 s13, s13, 0                                     // 000000002E30: 820D800D
	s_sub_i32 s63, s43, s62                                    // 000000002E34: 81BF3E2B
	s_cmp_lt_u32 s63, 0xe0                                     // 000000002E38: BF0AFF3F 000000E0
	s_cselect_b32 s62, s63, 0xe0                               // 000000002E40: 853EFF3F 000000E0
	s_mul_i32 s14, s37, s62                                    // 000000002E48: 920E3E25
	s_mov_b32 s15, 0x20000                                     // 000000002E4C: BE8F00FF 00020000
	v_lshrrev_b32_e32 v4, 3, v0                                // 000000002E54: 20080083
	v_lshrrev_b32_e32 v5, 2, v4                                // 000000002E58: 200A0882
	v_lshlrev_b32_e32 v5, 4, v5                                // 000000002E5C: 240A0A84
	v_and_b32_e32 v4, 3, v4                                    // 000000002E60: 26080883
	v_lshrrev_b32_e32 v6, 1, v4                                // 000000002E64: 200C0881
	v_lshlrev_b32_e32 v6, 2, v6                                // 000000002E68: 240C0C82
	v_add_u32_e32 v5, v5, v6                                   // 000000002E6C: 680A0D05
	v_and_b32_e32 v4, 1, v4                                    // 000000002E70: 26080881
	v_add_u32_e32 v5, v5, v4                                   // 000000002E74: 680A0905
	v_mul_lo_u32 v195, s37, v5                                 // 000000002E78: D28500C3 00020A25
	v_and_b32_e32 v4, 7, v0                                    // 000000002E80: 26080087
	v_lshlrev_b32_e32 v4, 4, v4                                // 000000002E84: 24080884
	v_add_u32_e32 v195, v4, v195                               // 000000002E88: 69878704
	s_lshr_b32 s62, s46, 1                                     // 000000002E8C: 8F3E812E
	s_mul_i32 s62, s62, 8                                      // 000000002E90: 923E883E
	s_and_b32 s63, s46, 1                                      // 000000002E94: 863F812E
	s_mul_i32 s63, s63, 2                                      // 000000002E98: 923F823F
	s_add_u32 s62, s62, s63                                    // 000000002E9C: 803E3F3E
	s_mul_i32 s62, s37, s62                                    // 000000002EA0: 923E3E25
	v_add_u32_e32 v195, s62, v195                              // 000000002EA4: 6987863E
	s_mul_i32 s62, s37, 32                                     // 000000002EA8: 923EA025
	v_add_u32_e32 v196, s62, v195                              // 000000002EAC: 6989863E
	v_add_u32_e32 v197, s62, v196                              // 000000002EB0: 698B883E
	v_add_u32_e32 v198, s62, v197                              // 000000002EB4: 698D8A3E
	v_add_u32_e32 v199, s62, v198                              // 000000002EB8: 698F8C3E
	v_add_u32_e32 v200, s62, v199                              // 000000002EBC: 69918E3E
	v_add_u32_e32 v201, s62, v200                              // 000000002EC0: 6993903E
	s_mul_i32 s64, 0x420, s46                                  // 000000002EC4: 92402EFF 00000420
	s_add_u32 s64, 0x2000, s64                                 // 000000002ECC: 804040FF 00002000
	v_and_b32_e32 v4, 15, v0                                   // 000000002ED4: 2608008F
	v_lshrrev_b32_e32 v5, 3, v4                                // 000000002ED8: 200A0883
	v_mul_i32_i24_e32 v5, 2, v5                                // 000000002EDC: 0C0A0A82
	v_and_b32_e32 v4, 3, v0                                    // 000000002EE0: 26080083
	v_lshrrev_b32_e32 v6, 1, v4                                // 000000002EE4: 200C0881
	v_add_u32_e32 v4, v5, v6                                   // 000000002EE8: 68080D05
	v_mul_i32_i24_e32 v202, 0x420, v4                          // 000000002EEC: 0D9408FF 00000420
	v_and_b32_e32 v4, 7, v0                                    // 000000002EF4: 26080087
	v_lshrrev_b32_e32 v5, 2, v4                                // 000000002EF8: 200A0882
	v_mul_i32_i24_e32 v5, 0x100, v5                            // 000000002EFC: 0C0A0AFF 00000100
	v_add_u32_e32 v202, v5, v202                               // 000000002F04: 69959505
	v_and_b32_e32 v4, 1, v0                                    // 000000002F08: 26080081
	v_mul_i32_i24_e32 v6, 0x80, v4                             // 000000002F0C: 0C0C08FF 00000080
	v_add_u32_e32 v202, v6, v202                               // 000000002F14: 69959506
	v_lshrrev_b32_e32 v4, 4, v0                                // 000000002F18: 20080084
	v_mul_i32_i24_e32 v4, 16, v4                               // 000000002F1C: 0C080890
	v_add_u32_e32 v202, v4, v202                               // 000000002F20: 69959504
	v_add_u32_e32 v202, 0x2000, v202                           // 000000002F24: 699594FF 00002000
	v_add_u32_e32 v203, 0x7380, v202                           // 000000002F2C: 699794FF 00007380
	v_add_u32_e32 v204, 0x7380, v203                           // 000000002F34: 699996FF 00007380
	v_add_u32_e32 v205, 0x7380, v204                           // 000000002F3C: 699B98FF 00007380
	s_mul_i32 s62, s48, 0xe0                                   // 000000002F44: 923EFF30 000000E0
	s_mul_hi_u32 s63, s39, s62                                 // 000000002F4C: 963F3E27
	s_add_u32 s21, s21, s63                                    // 000000002F50: 80153F15
	s_mul_i32 s63, s39, s62                                    // 000000002F54: 923F3E27
	s_add_u32 s20, s20, s63                                    // 000000002F58: 80143F14
	s_addc_u32 s21, s21, 0                                     // 000000002F5C: 82158015
	s_add_u32 s63, s43, 31                                     // 000000002F60: 803F9F2B
	s_lshr_b32 s63, s63, 5                                     // 000000002F64: 8F3F853F
	s_lshl_b32 s63, s63, 5                                     // 000000002F68: 8E3F853F
	s_sub_i32 s63, s63, s62                                    // 000000002F6C: 81BF3E3F
	s_cmp_lt_u32 s63, 0xe0                                     // 000000002F70: BF0AFF3F 000000E0
	s_cselect_b32 s62, s63, 0xe0                               // 000000002F78: 853EFF3F 000000E0
	s_mul_i32 s22, s39, s62                                    // 000000002F80: 92163E27
	s_mov_b32 s23, 0x20000                                     // 000000002F84: BE9700FF 00020000
	v_lshlrev_b32_e32 v206, 2, v0                              // 000000002F8C: 259C0082
	s_mul_i32 s63, s46, 32                                     // 000000002F90: 923FA02E
	s_mul_i32 s63, s63, s39                                    // 000000002F94: 923F273F
	v_add_u32_e32 v206, s63, v206                              // 000000002F98: 699D9C3F
	s_mul_i32 s63, 0x80, s39                                   // 000000002F9C: 923F27FF 00000080
	v_add_u32_e32 v207, s63, v206                              // 000000002FA4: 699F9C3F
	s_mul_i32 s65, s46, 0x100                                  // 000000002FA8: 9241FF2E 00000100
	s_add_i32 s65, s65, 0                                      // 000000002FB0: 81418041
	v_lshlrev_b32_e32 v208, 2, v0                              // 000000002FB4: 25A00082
	v_add_u32_e32 v208, 0, v208                                // 000000002FB8: 69A1A080
	s_lshr_b32 s38, s38, 1                                     // 000000002FBC: 8F268126
	s_mul_i32 s62, s47, 0x80                                   // 000000002FC0: 923EFF2F 00000080
	s_mul_hi_u32 s63, s38, s62                                 // 000000002FC8: 963F3E26
	s_add_u32 s17, s17, s63                                    // 000000002FCC: 80113F11
	s_mul_i32 s63, s38, s62                                    // 000000002FD0: 923F3E26
	s_add_u32 s16, s16, s63                                    // 000000002FD4: 80103F10
	s_addc_u32 s17, s17, 0                                     // 000000002FD8: 82118011
	s_sub_i32 s63, s44, s62                                    // 000000002FDC: 81BF3E2C
	s_cmp_lt_u32 s63, 0x80                                     // 000000002FE0: BF0AFF3F 00000080
	s_cselect_b32 s62, s63, 0x80                               // 000000002FE8: 853EFF3F 00000080
	s_mul_i32 s18, s38, s62                                    // 000000002FF0: 92123E26
	s_mov_b32 s19, 0x20000                                     // 000000002FF4: BE9300FF 00020000
	v_lshlrev_b32_e32 v209, 4, v0                              // 000000002FFC: 25A20084
	s_mul_i32 s63, s46, 32                                     // 000000003000: 923FA02E
	s_mul_i32 s62, s63, s38                                    // 000000003004: 923E263F
	v_add_u32_e32 v209, s62, v209                              // 000000003008: 69A3A23E
	s_mul_i32 s62, 16, s38                                     // 00000000300C: 923E2690
	v_add_u32_e32 v210, s62, v209                              // 000000003010: 69A5A23E
	s_mul_i32 s62, s47, 0x80                                   // 000000003014: 923EFF2F 00000080
	s_mul_hi_u32 s63, s40, s62                                 // 00000000301C: 963F3E28
	s_add_u32 s25, s25, s63                                    // 000000003020: 80193F19
	s_mul_i32 s63, s40, s62                                    // 000000003024: 923F3E28
	s_add_u32 s24, s24, s63                                    // 000000003028: 80183F18
	s_addc_u32 s25, s25, 0                                     // 00000000302C: 82198019
	s_sub_i32 s63, s44, s62                                    // 000000003030: 81BF3E2C
	s_cmp_lt_u32 s63, 0x80                                     // 000000003034: BF0AFF3F 00000080
	s_cselect_b32 s62, s63, 0x80                               // 00000000303C: 853EFF3F 00000080
	s_mul_i32 s26, s40, s62                                    // 000000003044: 921A3E28
	s_mov_b32 s27, 0x20000                                     // 000000003048: BE9B00FF 00020000
	v_lshlrev_b32_e32 v211, 2, v0                              // 000000003050: 25A60082
	s_mul_i32 s63, s46, 32                                     // 000000003054: 923FA02E
	s_mul_i32 s63, s63, s40                                    // 000000003058: 923F283F
	v_add_u32_e32 v211, s63, v211                              // 00000000305C: 69A7A63F
	s_mov_b32 s66, 0x80                                        // 000000003060: BEC200FF 00000080
	s_mov_b32 s67, 0x800                                       // 000000003068: BEC300FF 00000800
	s_mov_b32 s68, 0x100                                       // 000000003070: BEC400FF 00000100
	s_mov_b32 s69, 0x100                                       // 000000003078: BEC500FF 00000100
	s_mov_b32 s60, 0                                           // 000000003080: BEBC0080
	s_mov_b32 s61, s45                                         // 000000003084: BEBD002D
	s_add_u32 m0, 0, s65                                       // 000000003088: 807C4180
	buffer_load_dword v206, s[20:23], 0 offen lds              // 00000000308C: E0511000 800500CE
	v_accvgpr_write_b32 a0, 0                                  // 000000003094: D3D94000 18000080
	v_accvgpr_write_b32 a1, 0                                  // 00000000309C: D3D94001 18000080
	v_accvgpr_write_b32 a2, 0                                  // 0000000030A4: D3D94002 18000080
	v_accvgpr_write_b32 a3, 0                                  // 0000000030AC: D3D94003 18000080
	v_accvgpr_write_b32 a4, 0                                  // 0000000030B4: D3D94004 18000080
	v_accvgpr_write_b32 a5, 0                                  // 0000000030BC: D3D94005 18000080
	s_add_u32 m0, 0x400, s65                                   // 0000000030C4: 807C41FF 00000400
	buffer_load_dword v207, s[20:23], 0 offen lds              // 0000000030CC: E0511000 800500CF
	v_accvgpr_write_b32 a6, 0                                  // 0000000030D4: D3D94006 18000080
	v_accvgpr_write_b32 a7, 0                                  // 0000000030DC: D3D94007 18000080
	v_accvgpr_write_b32 a8, 0                                  // 0000000030E4: D3D94008 18000080
	v_accvgpr_write_b32 a9, 0                                  // 0000000030EC: D3D94009 18000080
	v_accvgpr_write_b32 a10, 0                                 // 0000000030F4: D3D9400A 18000080
	v_accvgpr_write_b32 a11, 0                                 // 0000000030FC: D3D9400B 18000080
	s_add_u32 m0, 0, s64                                       // 000000003104: 807C4080
	buffer_load_dwordx4 v195, s[12:15], 0 offen lds            // 000000003108: E05D1000 800300C3
	v_accvgpr_write_b32 a12, 0                                 // 000000003110: D3D9400C 18000080
	v_accvgpr_write_b32 a13, 0                                 // 000000003118: D3D9400D 18000080
	v_accvgpr_write_b32 a14, 0                                 // 000000003120: D3D9400E 18000080
	v_accvgpr_write_b32 a15, 0                                 // 000000003128: D3D9400F 18000080
	v_accvgpr_write_b32 a16, 0                                 // 000000003130: D3D94010 18000080
	v_accvgpr_write_b32 a17, 0                                 // 000000003138: D3D94011 18000080
	s_add_u32 m0, 0x1080, s64                                  // 000000003140: 807C40FF 00001080
	buffer_load_dwordx4 v196, s[12:15], 0 offen lds            // 000000003148: E05D1000 800300C4
	v_accvgpr_write_b32 a18, 0                                 // 000000003150: D3D94012 18000080
	v_accvgpr_write_b32 a19, 0                                 // 000000003158: D3D94013 18000080
	v_accvgpr_write_b32 a20, 0                                 // 000000003160: D3D94014 18000080
	v_accvgpr_write_b32 a21, 0                                 // 000000003168: D3D94015 18000080
	v_accvgpr_write_b32 a22, 0                                 // 000000003170: D3D94016 18000080
	v_accvgpr_write_b32 a23, 0                                 // 000000003178: D3D94017 18000080
	s_add_u32 m0, 0x2100, s64                                  // 000000003180: 807C40FF 00002100
	buffer_load_dwordx4 v197, s[12:15], 0 offen lds            // 000000003188: E05D1000 800300C5
	v_accvgpr_write_b32 a24, 0                                 // 000000003190: D3D94018 18000080
	v_accvgpr_write_b32 a25, 0                                 // 000000003198: D3D94019 18000080
	v_accvgpr_write_b32 a26, 0                                 // 0000000031A0: D3D9401A 18000080
	v_accvgpr_write_b32 a27, 0                                 // 0000000031A8: D3D9401B 18000080
	v_accvgpr_write_b32 a28, 0                                 // 0000000031B0: D3D9401C 18000080
	v_accvgpr_write_b32 a29, 0                                 // 0000000031B8: D3D9401D 18000080
	s_add_u32 m0, 0x3180, s64                                  // 0000000031C0: 807C40FF 00003180
	buffer_load_dwordx4 v198, s[12:15], 0 offen lds            // 0000000031C8: E05D1000 800300C6
	v_accvgpr_write_b32 a30, 0                                 // 0000000031D0: D3D9401E 18000080
	v_accvgpr_write_b32 a31, 0                                 // 0000000031D8: D3D9401F 18000080
	v_accvgpr_write_b32 a32, 0                                 // 0000000031E0: D3D94020 18000080
	v_accvgpr_write_b32 a33, 0                                 // 0000000031E8: D3D94021 18000080
	v_accvgpr_write_b32 a34, 0                                 // 0000000031F0: D3D94022 18000080
	v_accvgpr_write_b32 a35, 0                                 // 0000000031F8: D3D94023 18000080
	s_add_u32 m0, 0x4200, s64                                  // 000000003200: 807C40FF 00004200
	buffer_load_dwordx4 v199, s[12:15], 0 offen lds            // 000000003208: E05D1000 800300C7
	v_accvgpr_write_b32 a36, 0                                 // 000000003210: D3D94024 18000080
	v_accvgpr_write_b32 a37, 0                                 // 000000003218: D3D94025 18000080
	v_accvgpr_write_b32 a38, 0                                 // 000000003220: D3D94026 18000080
	v_accvgpr_write_b32 a39, 0                                 // 000000003228: D3D94027 18000080
	v_accvgpr_write_b32 a40, 0                                 // 000000003230: D3D94028 18000080
	v_accvgpr_write_b32 a41, 0                                 // 000000003238: D3D94029 18000080
	s_add_u32 m0, 0x5280, s64                                  // 000000003240: 807C40FF 00005280
	buffer_load_dwordx4 v200, s[12:15], 0 offen lds            // 000000003248: E05D1000 800300C8
	v_accvgpr_write_b32 a42, 0                                 // 000000003250: D3D9402A 18000080
	v_accvgpr_write_b32 a43, 0                                 // 000000003258: D3D9402B 18000080
	v_accvgpr_write_b32 a44, 0                                 // 000000003260: D3D9402C 18000080
	v_accvgpr_write_b32 a45, 0                                 // 000000003268: D3D9402D 18000080
	v_accvgpr_write_b32 a46, 0                                 // 000000003270: D3D9402E 18000080
	v_accvgpr_write_b32 a47, 0                                 // 000000003278: D3D9402F 18000080
	s_add_u32 m0, 0x6300, s64                                  // 000000003280: 807C40FF 00006300
	buffer_load_dwordx4 v201, s[12:15], 0 offen lds            // 000000003288: E05D1000 800300C9
	v_accvgpr_write_b32 a48, 0                                 // 000000003290: D3D94030 18000080
	v_accvgpr_write_b32 a49, 0                                 // 000000003298: D3D94031 18000080
	v_accvgpr_write_b32 a50, 0                                 // 0000000032A0: D3D94032 18000080
	v_accvgpr_write_b32 a51, 0                                 // 0000000032A8: D3D94033 18000080
	v_accvgpr_write_b32 a52, 0                                 // 0000000032B0: D3D94034 18000080
	v_accvgpr_write_b32 a53, 0                                 // 0000000032B8: D3D94035 18000080
	buffer_load_dwordx4 v[120:123], v209, s[16:19], 0 offen    // 0000000032C0: E05C1000 800478D1
	v_accvgpr_write_b32 a54, 0                                 // 0000000032C8: D3D94036 18000080
	v_accvgpr_write_b32 a55, 0                                 // 0000000032D0: D3D94037 18000080
	v_accvgpr_write_b32 a56, 0                                 // 0000000032D8: D3D94038 18000080
	v_accvgpr_write_b32 a57, 0                                 // 0000000032E0: D3D94039 18000080
	v_accvgpr_write_b32 a58, 0                                 // 0000000032E8: D3D9403A 18000080
	v_accvgpr_write_b32 a59, 0                                 // 0000000032F0: D3D9403B 18000080
	buffer_load_dwordx4 v[124:127], v210, s[16:19], 0 offen    // 0000000032F8: E05C1000 80047CD2
	v_accvgpr_write_b32 a60, 0                                 // 000000003300: D3D9403C 18000080
	v_accvgpr_write_b32 a61, 0                                 // 000000003308: D3D9403D 18000080
	v_accvgpr_write_b32 a62, 0                                 // 000000003310: D3D9403E 18000080
	v_accvgpr_write_b32 a63, 0                                 // 000000003318: D3D9403F 18000080
	v_accvgpr_write_b32 a64, 0                                 // 000000003320: D3D94040 18000080
	v_accvgpr_write_b32 a65, 0                                 // 000000003328: D3D94041 18000080
	buffer_load_dwordx4 v[128:131], v209, s[16:19], 0 offen offset:1024// 000000003330: E05C1400 800480D1
	v_accvgpr_write_b32 a66, 0                                 // 000000003338: D3D94042 18000080
	v_accvgpr_write_b32 a67, 0                                 // 000000003340: D3D94043 18000080
	v_accvgpr_write_b32 a68, 0                                 // 000000003348: D3D94044 18000080
	v_accvgpr_write_b32 a69, 0                                 // 000000003350: D3D94045 18000080
	v_accvgpr_write_b32 a70, 0                                 // 000000003358: D3D94046 18000080
	v_accvgpr_write_b32 a71, 0                                 // 000000003360: D3D94047 18000080
	buffer_load_dwordx4 v[132:135], v210, s[16:19], 0 offen offset:1024// 000000003368: E05C1400 800484D2
	v_accvgpr_write_b32 a72, 0                                 // 000000003370: D3D94048 18000080
	v_accvgpr_write_b32 a73, 0                                 // 000000003378: D3D94049 18000080
	v_accvgpr_write_b32 a74, 0                                 // 000000003380: D3D9404A 18000080
	v_accvgpr_write_b32 a75, 0                                 // 000000003388: D3D9404B 18000080
	v_accvgpr_write_b32 a76, 0                                 // 000000003390: D3D9404C 18000080
	v_accvgpr_write_b32 a77, 0                                 // 000000003398: D3D9404D 18000080
	buffer_load_dword v191, v211, s[24:27], 0 offen            // 0000000033A0: E0501000 8006BFD3
	v_accvgpr_write_b32 a78, 0                                 // 0000000033A8: D3D9404E 18000080
	v_accvgpr_write_b32 a79, 0                                 // 0000000033B0: D3D9404F 18000080
	v_accvgpr_write_b32 a80, 0                                 // 0000000033B8: D3D94050 18000080
	v_accvgpr_write_b32 a81, 0                                 // 0000000033C0: D3D94051 18000080
	v_accvgpr_write_b32 a82, 0                                 // 0000000033C8: D3D94052 18000080
	v_accvgpr_write_b32 a83, 0                                 // 0000000033D0: D3D94053 18000080
	s_add_u32 s62, 0x100, s60                                  // 0000000033D8: 803E3CFF 00000100
	s_cmp_lt_u32 s62, s61                                      // 0000000033E0: BF0A3D3E
	s_cselect_b32 s66, s66, 0                                  // 0000000033E4: 85428042
	s_cselect_b32 s68, s68, 0                                  // 0000000033E8: 85448044
	s_add_u32 s12, s12, s66                                    // 0000000033EC: 800C420C
	s_addc_u32 s13, 0, s13                                     // 0000000033F0: 820D0D80
	s_sub_u32 s14, s14, s66                                    // 0000000033F4: 808E420E
	s_add_u32 s20, s20, s68                                    // 0000000033F8: 80144414
	s_addc_u32 s21, 0, s21                                     // 0000000033FC: 82151580
	s_sub_u32 s22, s22, s68                                    // 000000003400: 80964416
	s_add_u32 s63, 0x100, s60                                  // 000000003404: 803F3CFF 00000100
	s_cmp_lt_u32 s63, s61                                      // 00000000340C: BF0A3D3F
	s_cselect_b32 s67, s67, 0                                  // 000000003410: 85438043
	s_cselect_b32 s69, s69, 0                                  // 000000003414: 85458045
	s_add_u32 s16, s16, s67                                    // 000000003418: 80104310
	s_addc_u32 s17, 0, s17                                     // 00000000341C: 82111180
	s_sub_u32 s18, s18, s67                                    // 000000003420: 80924312
	s_add_u32 s24, s24, s69                                    // 000000003424: 80184518
	s_addc_u32 s25, 0, s25                                     // 000000003428: 82191980
	s_sub_u32 s26, s26, s69                                    // 00000000342C: 809A451A
	s_add_u32 m0, 0x800, s65                                   // 000000003430: 807C41FF 00000800
	buffer_load_dword v206, s[20:23], 0 offen lds              // 000000003438: E0511000 800500CE
	v_accvgpr_write_b32 a84, 0                                 // 000000003440: D3D94054 18000080
	v_accvgpr_write_b32 a85, 0                                 // 000000003448: D3D94055 18000080
	v_accvgpr_write_b32 a86, 0                                 // 000000003450: D3D94056 18000080
	v_accvgpr_write_b32 a87, 0                                 // 000000003458: D3D94057 18000080
	v_accvgpr_write_b32 a88, 0                                 // 000000003460: D3D94058 18000080
	v_accvgpr_write_b32 a89, 0                                 // 000000003468: D3D94059 18000080
	s_add_u32 m0, 0xc00, s65                                   // 000000003470: 807C41FF 00000C00
	buffer_load_dword v207, s[20:23], 0 offen lds              // 000000003478: E0511000 800500CF
	v_accvgpr_write_b32 a90, 0                                 // 000000003480: D3D9405A 18000080
	v_accvgpr_write_b32 a91, 0                                 // 000000003488: D3D9405B 18000080
	v_accvgpr_write_b32 a92, 0                                 // 000000003490: D3D9405C 18000080
	v_accvgpr_write_b32 a93, 0                                 // 000000003498: D3D9405D 18000080
	v_accvgpr_write_b32 a94, 0                                 // 0000000034A0: D3D9405E 18000080
	v_accvgpr_write_b32 a95, 0                                 // 0000000034A8: D3D9405F 18000080
	s_add_u32 m0, 0x7380, s64                                  // 0000000034B0: 807C40FF 00007380
	buffer_load_dwordx4 v195, s[12:15], 0 offen lds            // 0000000034B8: E05D1000 800300C3
	v_accvgpr_write_b32 a96, 0                                 // 0000000034C0: D3D94060 18000080
	v_accvgpr_write_b32 a97, 0                                 // 0000000034C8: D3D94061 18000080
	v_accvgpr_write_b32 a98, 0                                 // 0000000034D0: D3D94062 18000080
	v_accvgpr_write_b32 a99, 0                                 // 0000000034D8: D3D94063 18000080
	v_accvgpr_write_b32 a100, 0                                // 0000000034E0: D3D94064 18000080
	v_accvgpr_write_b32 a101, 0                                // 0000000034E8: D3D94065 18000080
	s_add_u32 m0, 0x8400, s64                                  // 0000000034F0: 807C40FF 00008400
	buffer_load_dwordx4 v196, s[12:15], 0 offen lds            // 0000000034F8: E05D1000 800300C4
	v_accvgpr_write_b32 a102, 0                                // 000000003500: D3D94066 18000080
	v_accvgpr_write_b32 a103, 0                                // 000000003508: D3D94067 18000080
	v_accvgpr_write_b32 a104, 0                                // 000000003510: D3D94068 18000080
	v_accvgpr_write_b32 a105, 0                                // 000000003518: D3D94069 18000080
	v_accvgpr_write_b32 a106, 0                                // 000000003520: D3D9406A 18000080
	v_accvgpr_write_b32 a107, 0                                // 000000003528: D3D9406B 18000080
	s_add_u32 m0, 0x9480, s64                                  // 000000003530: 807C40FF 00009480
	buffer_load_dwordx4 v197, s[12:15], 0 offen lds            // 000000003538: E05D1000 800300C5
	v_accvgpr_write_b32 a108, 0                                // 000000003540: D3D9406C 18000080
	v_accvgpr_write_b32 a109, 0                                // 000000003548: D3D9406D 18000080
	v_accvgpr_write_b32 a110, 0                                // 000000003550: D3D9406E 18000080
	v_accvgpr_write_b32 a111, 0                                // 000000003558: D3D9406F 18000080
	s_add_u32 m0, 0xa500, s64                                  // 000000003560: 807C40FF 0000A500
	buffer_load_dwordx4 v198, s[12:15], 0 offen lds            // 000000003568: E05D1000 800300C6
	s_add_u32 m0, 0xb580, s64                                  // 000000003570: 807C40FF 0000B580
	buffer_load_dwordx4 v199, s[12:15], 0 offen lds            // 000000003578: E05D1000 800300C7
	s_add_u32 m0, 0xc600, s64                                  // 000000003580: 807C40FF 0000C600
	buffer_load_dwordx4 v200, s[12:15], 0 offen lds            // 000000003588: E05D1000 800300C8
	s_add_u32 m0, 0xd680, s64                                  // 000000003590: 807C40FF 0000D680
	buffer_load_dwordx4 v201, s[12:15], 0 offen lds            // 000000003598: E05D1000 800300C9
	buffer_load_dwordx4 v[136:139], v209, s[16:19], 0 offen    // 0000000035A0: E05C1000 800488D1
	buffer_load_dwordx4 v[140:143], v210, s[16:19], 0 offen    // 0000000035A8: E05C1000 80048CD2
	buffer_load_dwordx4 v[144:147], v209, s[16:19], 0 offen offset:1024// 0000000035B0: E05C1400 800490D1
	buffer_load_dwordx4 v[148:151], v210, s[16:19], 0 offen offset:1024// 0000000035B8: E05C1400 800494D2
	buffer_load_dword v192, v211, s[24:27], 0 offen            // 0000000035C0: E0501000 8006C0D3
	s_add_u32 s62, 0x200, s60                                  // 0000000035C8: 803E3CFF 00000200
	s_cmp_lt_u32 s62, s61                                      // 0000000035D0: BF0A3D3E
	s_cselect_b32 s66, s66, 0                                  // 0000000035D4: 85428042
	s_cselect_b32 s68, s68, 0                                  // 0000000035D8: 85448044
	s_add_u32 s12, s12, s66                                    // 0000000035DC: 800C420C
	s_addc_u32 s13, 0, s13                                     // 0000000035E0: 820D0D80
	s_sub_u32 s14, s14, s66                                    // 0000000035E4: 808E420E
	s_add_u32 s20, s20, s68                                    // 0000000035E8: 80144414
	s_addc_u32 s21, 0, s21                                     // 0000000035EC: 82151580
	s_sub_u32 s22, s22, s68                                    // 0000000035F0: 80964416
	s_add_u32 s63, 0x200, s60                                  // 0000000035F4: 803F3CFF 00000200
	s_cmp_lt_u32 s63, s61                                      // 0000000035FC: BF0A3D3F
	s_cselect_b32 s67, s67, 0                                  // 000000003600: 85438043
	s_cselect_b32 s69, s69, 0                                  // 000000003604: 85458045
	s_add_u32 s16, s16, s67                                    // 000000003608: 80104310
	s_addc_u32 s17, 0, s17                                     // 00000000360C: 82111180
	s_sub_u32 s18, s18, s67                                    // 000000003610: 80924312
	s_add_u32 s24, s24, s69                                    // 000000003614: 80184518
	s_addc_u32 s25, 0, s25                                     // 000000003618: 82191980
	s_sub_u32 s26, s26, s69                                    // 00000000361C: 809A451A
	s_add_u32 m0, 0x1000, s65                                  // 000000003620: 807C41FF 00001000
	buffer_load_dword v206, s[20:23], 0 offen lds              // 000000003628: E0511000 800500CE
	s_add_u32 m0, 0x1400, s65                                  // 000000003630: 807C41FF 00001400
	buffer_load_dword v207, s[20:23], 0 offen lds              // 000000003638: E0511000 800500CF
	s_add_u32 m0, 0xe700, s64                                  // 000000003640: 807C40FF 0000E700
	buffer_load_dwordx4 v195, s[12:15], 0 offen lds            // 000000003648: E05D1000 800300C3
	s_add_u32 m0, 0xf780, s64                                  // 000000003650: 807C40FF 0000F780
	buffer_load_dwordx4 v196, s[12:15], 0 offen lds            // 000000003658: E05D1000 800300C4
	s_add_u32 m0, 0x10800, s64                                 // 000000003660: 807C40FF 00010800
	buffer_load_dwordx4 v197, s[12:15], 0 offen lds            // 000000003668: E05D1000 800300C5
	s_add_u32 m0, 0x11880, s64                                 // 000000003670: 807C40FF 00011880
	buffer_load_dwordx4 v198, s[12:15], 0 offen lds            // 000000003678: E05D1000 800300C6
	s_add_u32 m0, 0x12900, s64                                 // 000000003680: 807C40FF 00012900
	buffer_load_dwordx4 v199, s[12:15], 0 offen lds            // 000000003688: E05D1000 800300C7
	s_add_u32 m0, 0x13980, s64                                 // 000000003690: 807C40FF 00013980
	buffer_load_dwordx4 v200, s[12:15], 0 offen lds            // 000000003698: E05D1000 800300C8
	s_add_u32 m0, 0x14a00, s64                                 // 0000000036A0: 807C40FF 00014A00
	buffer_load_dwordx4 v201, s[12:15], 0 offen lds            // 0000000036A8: E05D1000 800300C9
	buffer_load_dwordx4 v[152:155], v209, s[16:19], 0 offen    // 0000000036B0: E05C1000 800498D1
	buffer_load_dwordx4 v[156:159], v210, s[16:19], 0 offen    // 0000000036B8: E05C1000 80049CD2
	buffer_load_dwordx4 v[160:163], v209, s[16:19], 0 offen offset:1024// 0000000036C0: E05C1400 8004A0D1
	buffer_load_dwordx4 v[164:167], v210, s[16:19], 0 offen offset:1024// 0000000036C8: E05C1400 8004A4D2
	buffer_load_dword v193, v211, s[24:27], 0 offen            // 0000000036D0: E0501000 8006C1D3
	s_add_u32 s62, 0x300, s60                                  // 0000000036D8: 803E3CFF 00000300
	s_cmp_lt_u32 s62, s61                                      // 0000000036E0: BF0A3D3E
	s_cselect_b32 s66, s66, 0                                  // 0000000036E4: 85428042
	s_cselect_b32 s68, s68, 0                                  // 0000000036E8: 85448044
	s_add_u32 s12, s12, s66                                    // 0000000036EC: 800C420C
	s_addc_u32 s13, 0, s13                                     // 0000000036F0: 820D0D80
	s_sub_u32 s14, s14, s66                                    // 0000000036F4: 808E420E
	s_add_u32 s20, s20, s68                                    // 0000000036F8: 80144414
	s_addc_u32 s21, 0, s21                                     // 0000000036FC: 82151580
	s_sub_u32 s22, s22, s68                                    // 000000003700: 80964416
	s_add_u32 s63, 0x300, s60                                  // 000000003704: 803F3CFF 00000300
	s_cmp_lt_u32 s63, s61                                      // 00000000370C: BF0A3D3F
	s_cselect_b32 s67, s67, 0                                  // 000000003710: 85438043
	s_cselect_b32 s69, s69, 0                                  // 000000003714: 85458045
	s_add_u32 s16, s16, s67                                    // 000000003718: 80104310
	s_addc_u32 s17, 0, s17                                     // 00000000371C: 82111180
	s_sub_u32 s18, s18, s67                                    // 000000003720: 80924312
	s_add_u32 s24, s24, s69                                    // 000000003724: 80184518
	s_addc_u32 s25, 0, s25                                     // 000000003728: 82191980
	s_sub_u32 s26, s26, s69                                    // 00000000372C: 809A451A
	s_waitcnt vmcnt(38)                                        // 000000003730: BF8C8F76
	s_barrier                                                  // 000000003734: BF8A0000
	ds_read_b128 v[8:11], v202                                 // 000000003738: D9FE0000 080000CA
	ds_read_b128 v[16:19], v202 offset:64                      // 000000003740: D9FE0040 100000CA
	ds_read_b128 v[12:15], v202 offset:512                     // 000000003748: D9FE0200 0C0000CA
	ds_read_b128 v[20:23], v202 offset:576                     // 000000003750: D9FE0240 140000CA
	ds_read_b32 v184, v208                                     // 000000003758: D86C0000 B80000D0
	ds_read_b128 v[24:27], v202 offset:4224                    // 000000003760: D9FE1080 180000CA
	ds_read_b128 v[32:35], v202 offset:4288                    // 000000003768: D9FE10C0 200000CA
	ds_read_b128 v[28:31], v202 offset:4736                    // 000000003770: D9FE1280 1C0000CA
	ds_read_b128 v[36:39], v202 offset:4800                    // 000000003778: D9FE12C0 240000CA
	ds_read_b32 v185, v208 offset:256                          // 000000003780: D86C0100 B90000D0
	s_nop 0                                                    // 000000003788: BF800000
	s_nop 0                                                    // 00000000378C: BF800000
	s_nop 0                                                    // 000000003790: BF800000
	s_nop 0                                                    // 000000003794: BF800000
	;; [unrolled: 1-line block ×3, first 2 shown]
	s_lshl_b32 s36, s36, 1                                     // 00000000379C: 8E248124
	s_mul_i32 s62, s48, 0xe0                                   // 0000000037A0: 923EFF30 000000E0
	s_mul_hi_u32 s63, s36, s62                                 // 0000000037A8: 963F3E24
	s_add_u32 s5, s5, s63                                      // 0000000037AC: 80053F05
	s_mul_i32 s63, s36, s62                                    // 0000000037B0: 923F3E24
	s_add_u32 s4, s4, s63                                      // 0000000037B4: 80043F04
	s_addc_u32 s5, s5, 0                                       // 0000000037B8: 82058005
	s_mul_i32 s63, s47, 0x80                                   // 0000000037BC: 923FFF2F 00000080
	s_lshl_b32 s63, s63, 1                                     // 0000000037C4: 8E3F813F
	s_add_u32 s4, s4, s63                                      // 0000000037C8: 80043F04
	s_addc_u32 s5, s5, 0                                       // 0000000037CC: 82058005
	s_sub_i32 s62, s43, s62                                    // 0000000037D0: 81BE3E2B
	s_cmp_lt_u32 s62, 0xe0                                     // 0000000037D4: BF0AFF3E 000000E0
	s_cselect_b32 s62, s62, 0xe0                               // 0000000037DC: 853EFF3E 000000E0
	s_mul_i32 s62, s36, s62                                    // 0000000037E4: 923E3E24
	s_sub_i32 s6, s62, s63                                     // 0000000037E8: 81863F3E
	s_mov_b32 s7, 0x20000                                      // 0000000037EC: BE8700FF 00020000
	s_mul_i32 s62, s46, 32                                     // 0000000037F4: 923EA02E
	s_lshl_b32 s62, s62, 1                                     // 0000000037F8: 8E3E813E
	v_lshrrev_b32_e32 v4, 5, v0                                // 0000000037FC: 20080085
	v_mul_i32_i24_e32 v4, 16, v4                               // 000000003800: 0C080890
	v_lshrrev_b32_e32 v5, 4, v0                                // 000000003804: 200A0084
	v_and_b32_e32 v5, 1, v5                                    // 000000003808: 260A0A81
	v_mul_i32_i24_e32 v5, 32, v5                               // 00000000380C: 0C0A0AA0
	v_add_u32_e32 v4, v4, v5                                   // 000000003810: 68080B04
	v_and_b32_e32 v5, 15, v0                                   // 000000003814: 260A008F
	v_mul_lo_u32 v212, s36, v5                                 // 000000003818: D28500D4 00020A24
	v_add_u32_e32 v212, s62, v212                              // 000000003820: 69A9A83E
	v_add_u32_e32 v212, v4, v212                               // 000000003824: 69A9A904
	s_cmp_lt_i32 s46, 2                                        // 000000003828: BF04822E
	s_cbranch_scc0 label_08E3                                  // 00000000382C: BF8405D7

0000000000003830 <label_030C>:
	s_waitcnt vmcnt(28) lgkmcnt(5)                             // 000000003830: BF8C457C
	s_barrier                                                  // 000000003834: BF8A0000
	v_mfma_scale_f32_16x16x128_f8f6f4 a[0:3], v[120:123], v[8:11], a[0:3], v191, v184 op_sel_hi:[0,0,0] cbsz:4 blgp:4// 000000003838: D3AC6000 000371BF D3AD8C00 84021178
	ds_read_b128 v[40:43], v202 offset:8448                    // 000000003848: D9FE2100 280000CA
	v_mfma_scale_f32_16x16x128_f8f6f4 a[4:7], v[120:123], v[12:15], a[4:7], v191, v184 op_sel_hi:[0,0,0] cbsz:4 blgp:4// 000000003850: D3AC7000 000371BF D3AD8C04 84121978
	s_add_u32 m0, 0x1800, s65                                  // 000000003860: 807C41FF 00001800
	buffer_load_dword v206, s[20:23], 0 offen lds              // 000000003868: E0511000 800500CE
	v_mfma_scale_f32_16x16x128_f8f6f4 a[8:11], v[124:127], v[8:11], a[8:11], v191, v184 op_sel_hi:[0,0,0] cbsz:4 blgp:4// 000000003870: D3AC6800 000371BF D3AD8C08 8422117C
	ds_read_b128 v[48:51], v202 offset:8512                    // 000000003880: D9FE2140 300000CA
	v_mfma_scale_f32_16x16x128_f8f6f4 a[12:15], v[124:127], v[12:15], a[12:15], v191, v184 op_sel_hi:[0,0,0] cbsz:4 blgp:4// 000000003888: D3AC7800 000371BF D3AD8C0C 8432197C
	v_mfma_scale_f32_16x16x128_f8f6f4 a[0:3], v[128:131], v[16:19], a[0:3], v191, v184 op_sel_hi:[0,0,0] cbsz:4 blgp:4// 000000003898: D3AC6000 180371BF D3AD8C00 84022180
	ds_read_b128 v[44:47], v202 offset:8960                    // 0000000038A8: D9FE2300 2C0000CA
	v_mfma_scale_f32_16x16x128_f8f6f4 a[4:7], v[128:131], v[20:23], a[4:7], v191, v184 op_sel_hi:[0,0,0] cbsz:4 blgp:4// 0000000038B0: D3AC7000 180371BF D3AD8C04 84122980
	s_add_u32 m0, 0x1c00, s65                                  // 0000000038C0: 807C41FF 00001C00
	buffer_load_dword v207, s[20:23], 0 offen lds              // 0000000038C8: E0511000 800500CF
	v_mfma_scale_f32_16x16x128_f8f6f4 a[8:11], v[132:135], v[16:19], a[8:11], v191, v184 op_sel_hi:[0,0,0] cbsz:4 blgp:4// 0000000038D0: D3AC6800 180371BF D3AD8C08 84222184
	ds_read_b128 v[52:55], v202 offset:9024                    // 0000000038E0: D9FE2340 340000CA
	v_mfma_scale_f32_16x16x128_f8f6f4 a[12:15], v[132:135], v[20:23], a[12:15], v191, v184 op_sel_hi:[0,0,0] cbsz:4 blgp:4// 0000000038E8: D3AC7800 180371BF D3AD8C0C 84322984
	ds_read_b32 v186, v208 offset:512                          // 0000000038F8: D86C0200 BA0000D0
	s_waitcnt lgkmcnt(5)                                       // 000000003900: BF8CC57F
	v_mfma_scale_f32_16x16x128_f8f6f4 a[16:19], v[120:123], v[24:27], a[16:19], v191, v185 op_sel_hi:[0,0,0] cbsz:4 blgp:4// 000000003904: D3AC6000 000373BF D3AD8C10 84423178
	ds_read_b128 v[56:59], v202 offset:12672                   // 000000003914: D9FE3180 380000CA
	v_mfma_scale_f32_16x16x128_f8f6f4 a[20:23], v[120:123], v[28:31], a[20:23], v191, v185 op_sel_hi:[0,0,0] cbsz:4 blgp:4// 00000000391C: D3AC7000 000373BF D3AD8C14 84523978
	s_add_u32 m0, 0x15a80, s64                                 // 00000000392C: 807C40FF 00015A80
	buffer_load_dwordx4 v195, s[12:15], 0 offen lds            // 000000003934: E05D1000 800300C3
	v_mfma_scale_f32_16x16x128_f8f6f4 a[24:27], v[124:127], v[24:27], a[24:27], v191, v185 op_sel_hi:[0,0,0] cbsz:4 blgp:4// 00000000393C: D3AC6800 000373BF D3AD8C18 8462317C
	ds_read_b128 v[64:67], v202 offset:12736                   // 00000000394C: D9FE31C0 400000CA
	v_mfma_scale_f32_16x16x128_f8f6f4 a[28:31], v[124:127], v[28:31], a[28:31], v191, v185 op_sel_hi:[0,0,0] cbsz:4 blgp:4// 000000003954: D3AC7800 000373BF D3AD8C1C 8472397C
	v_mfma_scale_f32_16x16x128_f8f6f4 a[16:19], v[128:131], v[32:35], a[16:19], v191, v185 op_sel_hi:[0,0,0] cbsz:4 blgp:4// 000000003964: D3AC6000 180373BF D3AD8C10 84424180
	ds_read_b128 v[60:63], v202 offset:13184                   // 000000003974: D9FE3380 3C0000CA
	v_mfma_scale_f32_16x16x128_f8f6f4 a[20:23], v[128:131], v[36:39], a[20:23], v191, v185 op_sel_hi:[0,0,0] cbsz:4 blgp:4// 00000000397C: D3AC7000 180373BF D3AD8C14 84524980
	s_add_u32 m0, 0x16b00, s64                                 // 00000000398C: 807C40FF 00016B00
	buffer_load_dwordx4 v196, s[12:15], 0 offen lds            // 000000003994: E05D1000 800300C4
	v_mfma_scale_f32_16x16x128_f8f6f4 a[24:27], v[132:135], v[32:35], a[24:27], v191, v185 op_sel_hi:[0,0,0] cbsz:4 blgp:4// 00000000399C: D3AC6800 180373BF D3AD8C18 84624184
	ds_read_b128 v[68:71], v202 offset:13248                   // 0000000039AC: D9FE33C0 440000CA
	v_mfma_scale_f32_16x16x128_f8f6f4 a[28:31], v[132:135], v[36:39], a[28:31], v191, v185 op_sel_hi:[0,0,0] cbsz:4 blgp:4// 0000000039B4: D3AC7800 180373BF D3AD8C1C 84724984
	ds_read_b32 v187, v208 offset:768                          // 0000000039C4: D86C0300 BB0000D0
	s_waitcnt lgkmcnt(5)                                       // 0000000039CC: BF8CC57F
	v_mfma_scale_f32_16x16x128_f8f6f4 a[32:35], v[120:123], v[40:43], a[32:35], v191, v186 op_sel_hi:[0,0,0] cbsz:4 blgp:4// 0000000039D0: D3AC6000 000375BF D3AD8C20 84825178
	ds_read_b128 v[72:75], v202 offset:16896                   // 0000000039E0: D9FE4200 480000CA
	v_mfma_scale_f32_16x16x128_f8f6f4 a[36:39], v[120:123], v[44:47], a[36:39], v191, v186 op_sel_hi:[0,0,0] cbsz:4 blgp:4// 0000000039E8: D3AC7000 000375BF D3AD8C24 84925978
	s_add_u32 m0, 0x17b80, s64                                 // 0000000039F8: 807C40FF 00017B80
	buffer_load_dwordx4 v197, s[12:15], 0 offen lds            // 000000003A00: E05D1000 800300C5
	v_mfma_scale_f32_16x16x128_f8f6f4 a[40:43], v[124:127], v[40:43], a[40:43], v191, v186 op_sel_hi:[0,0,0] cbsz:4 blgp:4// 000000003A08: D3AC4800 000375BF D3AD8C28 84A2517C
	ds_read_b128 v[80:83], v202 offset:16960                   // 000000003A18: D9FE4240 500000CA
	v_mfma_scale_f32_16x16x128_f8f6f4 a[44:47], v[124:127], v[44:47], a[44:47], v191, v186 op_sel_hi:[0,0,0] cbsz:4 blgp:4// 000000003A20: D3AC3800 000375BF D3AD8C2C 84B2597C
	v_mfma_scale_f32_16x16x128_f8f6f4 a[32:35], v[128:131], v[48:51], a[32:35], v191, v186 op_sel_hi:[0,0,0] cbsz:4 blgp:4// 000000003A30: D3AC6000 180375BF D3AD8C20 84826180
	ds_read_b128 v[76:79], v202 offset:17408                   // 000000003A40: D9FE4400 4C0000CA
	v_mfma_scale_f32_16x16x128_f8f6f4 a[36:39], v[128:131], v[52:55], a[36:39], v191, v186 op_sel_hi:[0,0,0] cbsz:4 blgp:4// 000000003A48: D3AC7000 180375BF D3AD8C24 84926980
	s_add_u32 m0, 0x18c00, s64                                 // 000000003A58: 807C40FF 00018C00
	buffer_load_dwordx4 v198, s[12:15], 0 offen lds            // 000000003A60: E05D1000 800300C6
	v_mfma_scale_f32_16x16x128_f8f6f4 a[40:43], v[132:135], v[48:51], a[40:43], v191, v186 op_sel_hi:[0,0,0] cbsz:4 blgp:4// 000000003A68: D3AC6800 180375BF D3AD8C28 84A26184
	ds_read_b128 v[84:87], v202 offset:17472                   // 000000003A78: D9FE4440 540000CA
	v_mfma_scale_f32_16x16x128_f8f6f4 a[44:47], v[132:135], v[52:55], a[44:47], v191, v186 op_sel_hi:[0,0,0] cbsz:4 blgp:4// 000000003A80: D3AC7800 180375BF D3AD8C2C 84B26984
	ds_read_b32 v188, v208 offset:1024                         // 000000003A90: D86C0400 BC0000D0
	s_waitcnt lgkmcnt(5)                                       // 000000003A98: BF8CC57F
	v_mfma_scale_f32_16x16x128_f8f6f4 a[48:51], v[120:123], v[56:59], a[48:51], v191, v187 op_sel_hi:[0,0,0] cbsz:4 blgp:4// 000000003A9C: D3AC6000 000377BF D3AD8C30 84C27178
	ds_read_b128 v[88:91], v202 offset:21120                   // 000000003AAC: D9FE5280 580000CA
	v_mfma_scale_f32_16x16x128_f8f6f4 a[52:55], v[120:123], v[60:63], a[52:55], v191, v187 op_sel_hi:[0,0,0] cbsz:4 blgp:4// 000000003AB4: D3AC7000 000377BF D3AD8C34 84D27978
	s_add_u32 m0, 0x19c80, s64                                 // 000000003AC4: 807C40FF 00019C80
	buffer_load_dwordx4 v199, s[12:15], 0 offen lds            // 000000003ACC: E05D1000 800300C7
	v_mfma_scale_f32_16x16x128_f8f6f4 a[56:59], v[124:127], v[56:59], a[56:59], v191, v187 op_sel_hi:[0,0,0] cbsz:4 blgp:4// 000000003AD4: D3AC6800 000377BF D3AD8C38 84E2717C
	ds_read_b128 v[96:99], v202 offset:21184                   // 000000003AE4: D9FE52C0 600000CA
	v_mfma_scale_f32_16x16x128_f8f6f4 a[60:63], v[124:127], v[60:63], a[60:63], v191, v187 op_sel_hi:[0,0,0] cbsz:4 blgp:4// 000000003AEC: D3AC7800 000377BF D3AD8C3C 84F2797C
	v_mfma_scale_f32_16x16x128_f8f6f4 a[48:51], v[128:131], v[64:67], a[48:51], v191, v187 op_sel_hi:[0,0,0] cbsz:4 blgp:4// 000000003AFC: D3AC6000 180377BF D3AD8C30 84C28180
	ds_read_b128 v[92:95], v202 offset:21632                   // 000000003B0C: D9FE5480 5C0000CA
	v_mfma_scale_f32_16x16x128_f8f6f4 a[52:55], v[128:131], v[68:71], a[52:55], v191, v187 op_sel_hi:[0,0,0] cbsz:4 blgp:4// 000000003B14: D3AC7000 180377BF D3AD8C34 84D28980
	s_add_u32 m0, 0x1ad00, s64                                 // 000000003B24: 807C40FF 0001AD00
	buffer_load_dwordx4 v200, s[12:15], 0 offen lds            // 000000003B2C: E05D1000 800300C8
	v_mfma_scale_f32_16x16x128_f8f6f4 a[56:59], v[132:135], v[64:67], a[56:59], v191, v187 op_sel_hi:[0,0,0] cbsz:4 blgp:4// 000000003B34: D3AC6800 180377BF D3AD8C38 84E28184
	ds_read_b128 v[100:103], v202 offset:21696                 // 000000003B44: D9FE54C0 640000CA
	v_mfma_scale_f32_16x16x128_f8f6f4 a[60:63], v[132:135], v[68:71], a[60:63], v191, v187 op_sel_hi:[0,0,0] cbsz:4 blgp:4// 000000003B4C: D3AC7800 180377BF D3AD8C3C 84F28984
	ds_read_b32 v189, v208 offset:1280                         // 000000003B5C: D86C0500 BD0000D0
	s_waitcnt lgkmcnt(5)                                       // 000000003B64: BF8CC57F
	v_mfma_scale_f32_16x16x128_f8f6f4 a[64:67], v[120:123], v[72:75], a[64:67], v191, v188 op_sel_hi:[0,0,0] cbsz:4 blgp:4// 000000003B68: D3AC6000 000379BF D3AD8C40 85029178
	ds_read_b128 v[104:107], v202 offset:25344                 // 000000003B78: D9FE6300 680000CA
	v_mfma_scale_f32_16x16x128_f8f6f4 a[68:71], v[120:123], v[76:79], a[68:71], v191, v188 op_sel_hi:[0,0,0] cbsz:4 blgp:4// 000000003B80: D3AC7000 000379BF D3AD8C44 85129978
	s_add_u32 m0, 0x1bd80, s64                                 // 000000003B90: 807C40FF 0001BD80
	buffer_load_dwordx4 v201, s[12:15], 0 offen lds            // 000000003B98: E05D1000 800300C9
	v_mfma_scale_f32_16x16x128_f8f6f4 a[72:75], v[124:127], v[72:75], a[72:75], v191, v188 op_sel_hi:[0,0,0] cbsz:4 blgp:4// 000000003BA0: D3AC6800 000379BF D3AD8C48 8522917C
	s_add_u32 s62, 0x400, s60                                  // 000000003BB0: 803E3CFF 00000400
	ds_read_b128 v[112:115], v202 offset:25408                 // 000000003BB8: D9FE6340 700000CA
	v_mfma_scale_f32_16x16x128_f8f6f4 a[76:79], v[124:127], v[76:79], a[76:79], v191, v188 op_sel_hi:[0,0,0] cbsz:4 blgp:4// 000000003BC0: D3AC7800 000379BF D3AD8C4C 8532997C
	s_cmp_lt_u32 s62, s61                                      // 000000003BD0: BF0A3D3E
	s_cselect_b32 s66, s66, 0                                  // 000000003BD4: 85428042
	v_mfma_scale_f32_16x16x128_f8f6f4 a[64:67], v[128:131], v[80:83], a[64:67], v191, v188 op_sel_hi:[0,0,0] cbsz:4 blgp:4// 000000003BD8: D3AC6000 180379BF D3AD8C40 8502A180
	s_cselect_b32 s68, s68, 0                                  // 000000003BE8: 85448044
	ds_read_b128 v[108:111], v202 offset:25856                 // 000000003BEC: D9FE6500 6C0000CA
	v_mfma_scale_f32_16x16x128_f8f6f4 a[68:71], v[128:131], v[84:87], a[68:71], v191, v188 op_sel_hi:[0,0,0] cbsz:4 blgp:4// 000000003BF4: D3AC7000 180379BF D3AD8C44 8512A980
	s_add_u32 s12, s12, s66                                    // 000000003C04: 800C420C
	buffer_load_dwordx4 v[168:171], v209, s[16:19], 0 offen    // 000000003C08: E05C1000 8004A8D1
	v_mfma_scale_f32_16x16x128_f8f6f4 a[72:75], v[132:135], v[80:83], a[72:75], v191, v188 op_sel_hi:[0,0,0] cbsz:4 blgp:4// 000000003C10: D3AC6800 180379BF D3AD8C48 8522A184
	s_addc_u32 s13, 0, s13                                     // 000000003C20: 820D0D80
	ds_read_b128 v[116:119], v202 offset:25920                 // 000000003C24: D9FE6540 740000CA
	v_mfma_scale_f32_16x16x128_f8f6f4 a[76:79], v[132:135], v[84:87], a[76:79], v191, v188 op_sel_hi:[0,0,0] cbsz:4 blgp:4// 000000003C2C: D3AC7800 180379BF D3AD8C4C 8532A984
	s_sub_u32 s14, s14, s66                                    // 000000003C3C: 808E420E
	s_add_u32 s20, s20, s68                                    // 000000003C40: 80144414
	ds_read_b32 v190, v208 offset:1536                         // 000000003C44: D86C0600 BE0000D0
	s_waitcnt vmcnt(34) lgkmcnt(5)                             // 000000003C4C: BF8C8572
	s_barrier                                                  // 000000003C50: BF8A0000
	v_mfma_scale_f32_16x16x128_f8f6f4 a[80:83], v[120:123], v[88:91], a[80:83], v191, v189 op_sel_hi:[0,0,0] cbsz:4 blgp:4// 000000003C54: D3AC6000 00037BBF D3AD8C50 8542B178
	s_addc_u32 s21, 0, s21                                     // 000000003C64: 82151580
	ds_read_b128 v[8:11], v203                                 // 000000003C68: D9FE0000 080000CB
	v_mfma_scale_f32_16x16x128_f8f6f4 a[84:87], v[120:123], v[92:95], a[84:87], v191, v189 op_sel_hi:[0,0,0] cbsz:4 blgp:4// 000000003C70: D3AC7000 00037BBF D3AD8C54 8552B978
	s_sub_u32 s22, s22, s68                                    // 000000003C80: 80964416
	buffer_load_dwordx4 v[172:175], v210, s[16:19], 0 offen    // 000000003C84: E05C1000 8004ACD2
	v_mfma_scale_f32_16x16x128_f8f6f4 a[88:91], v[124:127], v[88:91], a[88:91], v191, v189 op_sel_hi:[0,0,0] cbsz:4 blgp:4// 000000003C8C: D3AC6800 00037BBF D3AD8C58 8562B17C
	s_add_u32 s63, 0x400, s60                                  // 000000003C9C: 803F3CFF 00000400
	ds_read_b128 v[16:19], v203 offset:64                      // 000000003CA4: D9FE0040 100000CB
	v_mfma_scale_f32_16x16x128_f8f6f4 a[92:95], v[124:127], v[92:95], a[92:95], v191, v189 op_sel_hi:[0,0,0] cbsz:4 blgp:4// 000000003CAC: D3AC7800 00037BBF D3AD8C5C 8572B97C
	s_cmp_lt_u32 s63, s61                                      // 000000003CBC: BF0A3D3F
	s_cselect_b32 s67, s67, 0                                  // 000000003CC0: 85438043
	v_mfma_scale_f32_16x16x128_f8f6f4 a[80:83], v[128:131], v[96:99], a[80:83], v191, v189 op_sel_hi:[0,0,0] cbsz:4 blgp:4// 000000003CC4: D3AC6000 18037BBF D3AD8C50 8542C180
	s_cselect_b32 s69, s69, 0                                  // 000000003CD4: 85458045
	ds_read_b128 v[12:15], v203 offset:512                     // 000000003CD8: D9FE0200 0C0000CB
	v_mfma_scale_f32_16x16x128_f8f6f4 a[84:87], v[128:131], v[100:103], a[84:87], v191, v189 op_sel_hi:[0,0,0] cbsz:4 blgp:4// 000000003CE0: D3AC7000 18037BBF D3AD8C54 8552C980
	buffer_load_dwordx4 v[176:179], v209, s[16:19], 0 offen offset:1024// 000000003CF0: E05C1400 8004B0D1
	v_mfma_scale_f32_16x16x128_f8f6f4 a[88:91], v[132:135], v[96:99], a[88:91], v191, v189 op_sel_hi:[0,0,0] cbsz:4 blgp:4// 000000003CF8: D3AC6800 18037BBF D3AD8C58 8562C184
	ds_read_b128 v[20:23], v203 offset:576                     // 000000003D08: D9FE0240 140000CB
	v_mfma_scale_f32_16x16x128_f8f6f4 a[92:95], v[132:135], v[100:103], a[92:95], v191, v189 op_sel_hi:[0,0,0] cbsz:4 blgp:4// 000000003D10: D3AC7800 18037BBF D3AD8C5C 8572C984
	ds_read_b32 v184, v208 offset:2048                         // 000000003D20: D86C0800 B80000D0
	s_waitcnt lgkmcnt(5)                                       // 000000003D28: BF8CC57F
	v_mfma_scale_f32_16x16x128_f8f6f4 a[96:99], v[120:123], v[104:107], a[96:99], v191, v190 op_sel_hi:[0,0,0] cbsz:4 blgp:4// 000000003D2C: D3AC6000 00037DBF D3AD8C60 8582D178
	ds_read_b128 v[24:27], v203 offset:4224                    // 000000003D3C: D9FE1080 180000CB
	v_mfma_scale_f32_16x16x128_f8f6f4 a[100:103], v[120:123], v[108:111], a[100:103], v191, v190 op_sel_hi:[0,0,0] cbsz:4 blgp:4// 000000003D44: D3AC5000 00037DBF D3AD8C64 8592D978
	buffer_load_dwordx4 v[180:183], v210, s[16:19], 0 offen offset:1024// 000000003D54: E05C1400 8004B4D2
	v_mfma_scale_f32_16x16x128_f8f6f4 a[104:107], v[124:127], v[104:107], a[104:107], v191, v190 op_sel_hi:[0,0,0] cbsz:4 blgp:4// 000000003D5C: D3AC6800 00037DBF D3AD8C68 85A2D17C
	ds_read_b128 v[32:35], v203 offset:4288                    // 000000003D6C: D9FE10C0 200000CB
	v_mfma_scale_f32_16x16x128_f8f6f4 a[108:111], v[124:127], v[108:111], a[108:111], v191, v190 op_sel_hi:[0,0,0] cbsz:4 blgp:4// 000000003D74: D3AC7800 00037DBF D3AD8C6C 85B2D97C
	v_mfma_scale_f32_16x16x128_f8f6f4 a[96:99], v[128:131], v[112:115], a[96:99], v191, v190 op_sel_hi:[0,0,0] cbsz:4 blgp:4// 000000003D84: D3AC6000 18037DBF D3AD8C60 8582E180
	ds_read_b128 v[28:31], v203 offset:4736                    // 000000003D94: D9FE1280 1C0000CB
	v_mfma_scale_f32_16x16x128_f8f6f4 a[100:103], v[128:131], v[116:119], a[100:103], v191, v190 op_sel_hi:[0,0,0] cbsz:4 blgp:4// 000000003D9C: D3AC7000 18037DBF D3AD8C64 8592E980
	buffer_load_dword v194, v211, s[24:27], 0 offen            // 000000003DAC: E0501000 8006C2D3
	v_mfma_scale_f32_16x16x128_f8f6f4 a[104:107], v[132:135], v[112:115], a[104:107], v191, v190 op_sel_hi:[0,0,0] cbsz:4 blgp:4// 000000003DB4: D3AC6800 18037DBF D3AD8C68 85A2E184
	s_add_u32 s16, s16, s67                                    // 000000003DC4: 80104310
	ds_read_b128 v[36:39], v203 offset:4800                    // 000000003DC8: D9FE12C0 240000CB
	v_mfma_scale_f32_16x16x128_f8f6f4 a[108:111], v[132:135], v[116:119], a[108:111], v191, v190 op_sel_hi:[0,0,0] cbsz:4 blgp:4// 000000003DD0: D3AC7800 18037DBF D3AD8C6C 85B2E984
	s_addc_u32 s17, 0, s17                                     // 000000003DE0: 82111180
	s_sub_u32 s18, s18, s67                                    // 000000003DE4: 80924312
	ds_read_b32 v185, v208 offset:2304                         // 000000003DE8: D86C0900 B90000D0
	s_add_u32 s24, s24, s69                                    // 000000003DF0: 80184518
	s_addc_u32 s25, 0, s25                                     // 000000003DF4: 82191980
	s_sub_u32 s26, s26, s69                                    // 000000003DF8: 809A451A
	s_addk_i32 s60, 0x100                                      // 000000003DFC: B73C0100
	s_cmp_lt_i32 s60, s61                                      // 000000003E00: BF043D3C
	s_cbranch_scc0 label_0EBA                                  // 000000003E04: BF840A38
	s_waitcnt vmcnt(28) lgkmcnt(5)                             // 000000003E08: BF8C457C
	s_barrier                                                  // 000000003E0C: BF8A0000
	v_mfma_scale_f32_16x16x128_f8f6f4 a[0:3], v[136:139], v[8:11], a[0:3], v192, v184 op_sel_hi:[0,0,0] cbsz:4 blgp:4// 000000003E10: D3AC2000 000371C0 D3AD8C00 84021188
	ds_read_b128 v[40:43], v203 offset:8448                    // 000000003E20: D9FE2100 280000CB
	v_mfma_scale_f32_16x16x128_f8f6f4 a[4:7], v[136:139], v[12:15], a[4:7], v192, v184 op_sel_hi:[0,0,0] cbsz:4 blgp:4// 000000003E28: D3AC7000 000371C0 D3AD8C04 84121988
	s_add_u32 m0, 0, s65                                       // 000000003E38: 807C4180
	buffer_load_dword v206, s[20:23], 0 offen lds              // 000000003E3C: E0511000 800500CE
	v_mfma_scale_f32_16x16x128_f8f6f4 a[8:11], v[140:143], v[8:11], a[8:11], v192, v184 op_sel_hi:[0,0,0] cbsz:4 blgp:4// 000000003E44: D3AC6800 000371C0 D3AD8C08 8422118C
	ds_read_b128 v[48:51], v203 offset:8512                    // 000000003E54: D9FE2140 300000CB
	v_mfma_scale_f32_16x16x128_f8f6f4 a[12:15], v[140:143], v[12:15], a[12:15], v192, v184 op_sel_hi:[0,0,0] cbsz:4 blgp:4// 000000003E5C: D3AC7800 000371C0 D3AD8C0C 8432198C
	v_mfma_scale_f32_16x16x128_f8f6f4 a[0:3], v[144:147], v[16:19], a[0:3], v192, v184 op_sel_hi:[0,0,0] cbsz:4 blgp:4// 000000003E6C: D3AC6000 180371C0 D3AD8C00 84022190
	ds_read_b128 v[44:47], v203 offset:8960                    // 000000003E7C: D9FE2300 2C0000CB
	v_mfma_scale_f32_16x16x128_f8f6f4 a[4:7], v[144:147], v[20:23], a[4:7], v192, v184 op_sel_hi:[0,0,0] cbsz:4 blgp:4// 000000003E84: D3AC7000 180371C0 D3AD8C04 84122990
	s_add_u32 m0, 0x400, s65                                   // 000000003E94: 807C41FF 00000400
	buffer_load_dword v207, s[20:23], 0 offen lds              // 000000003E9C: E0511000 800500CF
	v_mfma_scale_f32_16x16x128_f8f6f4 a[8:11], v[148:151], v[16:19], a[8:11], v192, v184 op_sel_hi:[0,0,0] cbsz:4 blgp:4// 000000003EA4: D3AC6800 180371C0 D3AD8C08 84222194
	ds_read_b128 v[52:55], v203 offset:9024                    // 000000003EB4: D9FE2340 340000CB
	v_mfma_scale_f32_16x16x128_f8f6f4 a[12:15], v[148:151], v[20:23], a[12:15], v192, v184 op_sel_hi:[0,0,0] cbsz:4 blgp:4// 000000003EBC: D3AC7800 180371C0 D3AD8C0C 84322994
	ds_read_b32 v186, v208 offset:2560                         // 000000003ECC: D86C0A00 BA0000D0
	s_waitcnt lgkmcnt(5)                                       // 000000003ED4: BF8CC57F
	v_mfma_scale_f32_16x16x128_f8f6f4 a[16:19], v[136:139], v[24:27], a[16:19], v192, v185 op_sel_hi:[0,0,0] cbsz:4 blgp:4// 000000003ED8: D3AC2000 000373C0 D3AD8C10 84423188
	ds_read_b128 v[56:59], v203 offset:12672                   // 000000003EE8: D9FE3180 380000CB
	v_mfma_scale_f32_16x16x128_f8f6f4 a[20:23], v[136:139], v[28:31], a[20:23], v192, v185 op_sel_hi:[0,0,0] cbsz:4 blgp:4// 000000003EF0: D3AC7000 000373C0 D3AD8C14 84523988
	s_add_u32 m0, 0, s64                                       // 000000003F00: 807C4080
	buffer_load_dwordx4 v195, s[12:15], 0 offen lds            // 000000003F04: E05D1000 800300C3
	v_mfma_scale_f32_16x16x128_f8f6f4 a[24:27], v[140:143], v[24:27], a[24:27], v192, v185 op_sel_hi:[0,0,0] cbsz:4 blgp:4// 000000003F0C: D3AC6800 000373C0 D3AD8C18 8462318C
	ds_read_b128 v[64:67], v203 offset:12736                   // 000000003F1C: D9FE31C0 400000CB
	v_mfma_scale_f32_16x16x128_f8f6f4 a[28:31], v[140:143], v[28:31], a[28:31], v192, v185 op_sel_hi:[0,0,0] cbsz:4 blgp:4// 000000003F24: D3AC7800 000373C0 D3AD8C1C 8472398C
	v_mfma_scale_f32_16x16x128_f8f6f4 a[16:19], v[144:147], v[32:35], a[16:19], v192, v185 op_sel_hi:[0,0,0] cbsz:4 blgp:4// 000000003F34: D3AC6000 180373C0 D3AD8C10 84424190
	ds_read_b128 v[60:63], v203 offset:13184                   // 000000003F44: D9FE3380 3C0000CB
	v_mfma_scale_f32_16x16x128_f8f6f4 a[20:23], v[144:147], v[36:39], a[20:23], v192, v185 op_sel_hi:[0,0,0] cbsz:4 blgp:4// 000000003F4C: D3AC7000 180373C0 D3AD8C14 84524990
	s_add_u32 m0, 0x1080, s64                                  // 000000003F5C: 807C40FF 00001080
	buffer_load_dwordx4 v196, s[12:15], 0 offen lds            // 000000003F64: E05D1000 800300C4
	v_mfma_scale_f32_16x16x128_f8f6f4 a[24:27], v[148:151], v[32:35], a[24:27], v192, v185 op_sel_hi:[0,0,0] cbsz:4 blgp:4// 000000003F6C: D3AC6800 180373C0 D3AD8C18 84624194
	ds_read_b128 v[68:71], v203 offset:13248                   // 000000003F7C: D9FE33C0 440000CB
	v_mfma_scale_f32_16x16x128_f8f6f4 a[28:31], v[148:151], v[36:39], a[28:31], v192, v185 op_sel_hi:[0,0,0] cbsz:4 blgp:4// 000000003F84: D3AC7800 180373C0 D3AD8C1C 84724994
	ds_read_b32 v187, v208 offset:2816                         // 000000003F94: D86C0B00 BB0000D0
	s_waitcnt lgkmcnt(5)                                       // 000000003F9C: BF8CC57F
	v_mfma_scale_f32_16x16x128_f8f6f4 a[32:35], v[136:139], v[40:43], a[32:35], v192, v186 op_sel_hi:[0,0,0] cbsz:4 blgp:4// 000000003FA0: D3AC6000 000375C0 D3AD8C20 84825188
	ds_read_b128 v[72:75], v203 offset:16896                   // 000000003FB0: D9FE4200 480000CB
	v_mfma_scale_f32_16x16x128_f8f6f4 a[36:39], v[136:139], v[44:47], a[36:39], v192, v186 op_sel_hi:[0,0,0] cbsz:4 blgp:4// 000000003FB8: D3AC7000 000375C0 D3AD8C24 84925988
	s_add_u32 m0, 0x2100, s64                                  // 000000003FC8: 807C40FF 00002100
	buffer_load_dwordx4 v197, s[12:15], 0 offen lds            // 000000003FD0: E05D1000 800300C5
	v_mfma_scale_f32_16x16x128_f8f6f4 a[40:43], v[140:143], v[40:43], a[40:43], v192, v186 op_sel_hi:[0,0,0] cbsz:4 blgp:4// 000000003FD8: D3AC6800 000375C0 D3AD8C28 84A2518C
	ds_read_b128 v[80:83], v203 offset:16960                   // 000000003FE8: D9FE4240 500000CB
	v_mfma_scale_f32_16x16x128_f8f6f4 a[44:47], v[140:143], v[44:47], a[44:47], v192, v186 op_sel_hi:[0,0,0] cbsz:4 blgp:4// 000000003FF0: D3AC7800 000375C0 D3AD8C2C 84B2598C
	v_mfma_scale_f32_16x16x128_f8f6f4 a[32:35], v[144:147], v[48:51], a[32:35], v192, v186 op_sel_hi:[0,0,0] cbsz:4 blgp:4// 000000004000: D3AC6000 180375C0 D3AD8C20 84826190
	ds_read_b128 v[76:79], v203 offset:17408                   // 000000004010: D9FE4400 4C0000CB
	v_mfma_scale_f32_16x16x128_f8f6f4 a[36:39], v[144:147], v[52:55], a[36:39], v192, v186 op_sel_hi:[0,0,0] cbsz:4 blgp:4// 000000004018: D3AC7000 180375C0 D3AD8C24 84926990
	s_add_u32 m0, 0x3180, s64                                  // 000000004028: 807C40FF 00003180
	buffer_load_dwordx4 v198, s[12:15], 0 offen lds            // 000000004030: E05D1000 800300C6
	v_mfma_scale_f32_16x16x128_f8f6f4 a[40:43], v[148:151], v[48:51], a[40:43], v192, v186 op_sel_hi:[0,0,0] cbsz:4 blgp:4// 000000004038: D3AC6800 180375C0 D3AD8C28 84A26194
	ds_read_b128 v[84:87], v203 offset:17472                   // 000000004048: D9FE4440 540000CB
	v_mfma_scale_f32_16x16x128_f8f6f4 a[44:47], v[148:151], v[52:55], a[44:47], v192, v186 op_sel_hi:[0,0,0] cbsz:4 blgp:4// 000000004050: D3AC7800 180375C0 D3AD8C2C 84B26994
	ds_read_b32 v188, v208 offset:3072                         // 000000004060: D86C0C00 BC0000D0
	s_waitcnt lgkmcnt(5)                                       // 000000004068: BF8CC57F
	v_mfma_scale_f32_16x16x128_f8f6f4 a[48:51], v[136:139], v[56:59], a[48:51], v192, v187 op_sel_hi:[0,0,0] cbsz:4 blgp:4// 00000000406C: D3AC6000 000377C0 D3AD8C30 84C27188
	ds_read_b128 v[88:91], v203 offset:21120                   // 00000000407C: D9FE5280 580000CB
	v_mfma_scale_f32_16x16x128_f8f6f4 a[52:55], v[136:139], v[60:63], a[52:55], v192, v187 op_sel_hi:[0,0,0] cbsz:4 blgp:4// 000000004084: D3AC7000 000377C0 D3AD8C34 84D27988
	s_add_u32 m0, 0x4200, s64                                  // 000000004094: 807C40FF 00004200
	buffer_load_dwordx4 v199, s[12:15], 0 offen lds            // 00000000409C: E05D1000 800300C7
	v_mfma_scale_f32_16x16x128_f8f6f4 a[56:59], v[140:143], v[56:59], a[56:59], v192, v187 op_sel_hi:[0,0,0] cbsz:4 blgp:4// 0000000040A4: D3AC6800 000377C0 D3AD8C38 84E2718C
	ds_read_b128 v[96:99], v203 offset:21184                   // 0000000040B4: D9FE52C0 600000CB
	v_mfma_scale_f32_16x16x128_f8f6f4 a[60:63], v[140:143], v[60:63], a[60:63], v192, v187 op_sel_hi:[0,0,0] cbsz:4 blgp:4// 0000000040BC: D3AC7800 000377C0 D3AD8C3C 84F2798C
	v_mfma_scale_f32_16x16x128_f8f6f4 a[48:51], v[144:147], v[64:67], a[48:51], v192, v187 op_sel_hi:[0,0,0] cbsz:4 blgp:4// 0000000040CC: D3AC6000 180377C0 D3AD8C30 84C28190
	ds_read_b128 v[92:95], v203 offset:21632                   // 0000000040DC: D9FE5480 5C0000CB
	v_mfma_scale_f32_16x16x128_f8f6f4 a[52:55], v[144:147], v[68:71], a[52:55], v192, v187 op_sel_hi:[0,0,0] cbsz:4 blgp:4// 0000000040E4: D3AC7000 180377C0 D3AD8C34 84D28990
	s_add_u32 m0, 0x5280, s64                                  // 0000000040F4: 807C40FF 00005280
	buffer_load_dwordx4 v200, s[12:15], 0 offen lds            // 0000000040FC: E05D1000 800300C8
	v_mfma_scale_f32_16x16x128_f8f6f4 a[56:59], v[148:151], v[64:67], a[56:59], v192, v187 op_sel_hi:[0,0,0] cbsz:4 blgp:4// 000000004104: D3AC6800 180377C0 D3AD8C38 84E28194
	ds_read_b128 v[100:103], v203 offset:21696                 // 000000004114: D9FE54C0 640000CB
	v_mfma_scale_f32_16x16x128_f8f6f4 a[60:63], v[148:151], v[68:71], a[60:63], v192, v187 op_sel_hi:[0,0,0] cbsz:4 blgp:4// 00000000411C: D3AC7800 180377C0 D3AD8C3C 84F28994
	ds_read_b32 v189, v208 offset:3328                         // 00000000412C: D86C0D00 BD0000D0
	s_waitcnt lgkmcnt(5)                                       // 000000004134: BF8CC57F
	v_mfma_scale_f32_16x16x128_f8f6f4 a[64:67], v[136:139], v[72:75], a[64:67], v192, v188 op_sel_hi:[0,0,0] cbsz:4 blgp:4// 000000004138: D3AC6000 000379C0 D3AD8C40 85029188
	ds_read_b128 v[104:107], v203 offset:25344                 // 000000004148: D9FE6300 680000CB
	v_mfma_scale_f32_16x16x128_f8f6f4 a[68:71], v[136:139], v[76:79], a[68:71], v192, v188 op_sel_hi:[0,0,0] cbsz:4 blgp:4// 000000004150: D3AC7000 000379C0 D3AD8C44 85129988
	s_add_u32 m0, 0x6300, s64                                  // 000000004160: 807C40FF 00006300
	buffer_load_dwordx4 v201, s[12:15], 0 offen lds            // 000000004168: E05D1000 800300C9
	v_mfma_scale_f32_16x16x128_f8f6f4 a[72:75], v[140:143], v[72:75], a[72:75], v192, v188 op_sel_hi:[0,0,0] cbsz:4 blgp:4// 000000004170: D3AC6800 000379C0 D3AD8C48 8522918C
	s_add_u32 s62, 0x400, s60                                  // 000000004180: 803E3CFF 00000400
	ds_read_b128 v[112:115], v203 offset:25408                 // 000000004188: D9FE6340 700000CB
	v_mfma_scale_f32_16x16x128_f8f6f4 a[76:79], v[140:143], v[76:79], a[76:79], v192, v188 op_sel_hi:[0,0,0] cbsz:4 blgp:4// 000000004190: D3AC7800 000379C0 D3AD8C4C 8532998C
	s_cmp_lt_u32 s62, s61                                      // 0000000041A0: BF0A3D3E
	s_cselect_b32 s66, s66, 0                                  // 0000000041A4: 85428042
	v_mfma_scale_f32_16x16x128_f8f6f4 a[64:67], v[144:147], v[80:83], a[64:67], v192, v188 op_sel_hi:[0,0,0] cbsz:4 blgp:4// 0000000041A8: D3AC6000 180379C0 D3AD8C40 8502A190
	s_cselect_b32 s68, s68, 0                                  // 0000000041B8: 85448044
	ds_read_b128 v[108:111], v203 offset:25856                 // 0000000041BC: D9FE6500 6C0000CB
	v_mfma_scale_f32_16x16x128_f8f6f4 a[68:71], v[144:147], v[84:87], a[68:71], v192, v188 op_sel_hi:[0,0,0] cbsz:4 blgp:4// 0000000041C4: D3AC7000 180379C0 D3AD8C44 8512A990
	s_add_u32 s12, s12, s66                                    // 0000000041D4: 800C420C
	buffer_load_dwordx4 v[120:123], v209, s[16:19], 0 offen    // 0000000041D8: E05C1000 800478D1
	v_mfma_scale_f32_16x16x128_f8f6f4 a[72:75], v[148:151], v[80:83], a[72:75], v192, v188 op_sel_hi:[0,0,0] cbsz:4 blgp:4// 0000000041E0: D3AC6800 180379C0 D3AD8C48 8522A194
	s_addc_u32 s13, 0, s13                                     // 0000000041F0: 820D0D80
	ds_read_b128 v[116:119], v203 offset:25920                 // 0000000041F4: D9FE6540 740000CB
	v_mfma_scale_f32_16x16x128_f8f6f4 a[76:79], v[148:151], v[84:87], a[76:79], v192, v188 op_sel_hi:[0,0,0] cbsz:4 blgp:4// 0000000041FC: D3AC7800 180379C0 D3AD8C4C 8532A994
	s_sub_u32 s14, s14, s66                                    // 00000000420C: 808E420E
	s_add_u32 s20, s20, s68                                    // 000000004210: 80144414
	ds_read_b32 v190, v208 offset:3584                         // 000000004214: D86C0E00 BE0000D0
	s_waitcnt vmcnt(34) lgkmcnt(5)                             // 00000000421C: BF8C8572
	s_barrier                                                  // 000000004220: BF8A0000
	v_mfma_scale_f32_16x16x128_f8f6f4 a[80:83], v[136:139], v[88:91], a[80:83], v192, v189 op_sel_hi:[0,0,0] cbsz:4 blgp:4// 000000004224: D3AC6000 00037BC0 D3AD8C50 8542B188
	s_addc_u32 s21, 0, s21                                     // 000000004234: 82151580
	ds_read_b128 v[8:11], v204                                 // 000000004238: D9FE0000 080000CC
	v_mfma_scale_f32_16x16x128_f8f6f4 a[84:87], v[136:139], v[92:95], a[84:87], v192, v189 op_sel_hi:[0,0,0] cbsz:4 blgp:4// 000000004240: D3AC7000 00037BC0 D3AD8C54 8552B988
	s_sub_u32 s22, s22, s68                                    // 000000004250: 80964416
	buffer_load_dwordx4 v[124:127], v210, s[16:19], 0 offen    // 000000004254: E05C1000 80047CD2
	v_mfma_scale_f32_16x16x128_f8f6f4 a[88:91], v[140:143], v[88:91], a[88:91], v192, v189 op_sel_hi:[0,0,0] cbsz:4 blgp:4// 00000000425C: D3AC6800 00037BC0 D3AD8C58 8562B18C
	s_add_u32 s63, 0x400, s60                                  // 00000000426C: 803F3CFF 00000400
	ds_read_b128 v[16:19], v204 offset:64                      // 000000004274: D9FE0040 100000CC
	v_mfma_scale_f32_16x16x128_f8f6f4 a[92:95], v[140:143], v[92:95], a[92:95], v192, v189 op_sel_hi:[0,0,0] cbsz:4 blgp:4// 00000000427C: D3AC7800 00037BC0 D3AD8C5C 8572B98C
	s_cmp_lt_u32 s63, s61                                      // 00000000428C: BF0A3D3F
	s_cselect_b32 s67, s67, 0                                  // 000000004290: 85438043
	v_mfma_scale_f32_16x16x128_f8f6f4 a[80:83], v[144:147], v[96:99], a[80:83], v192, v189 op_sel_hi:[0,0,0] cbsz:4 blgp:4// 000000004294: D3AC6000 18037BC0 D3AD8C50 8542C190
	s_cselect_b32 s69, s69, 0                                  // 0000000042A4: 85458045
	ds_read_b128 v[12:15], v204 offset:512                     // 0000000042A8: D9FE0200 0C0000CC
	v_mfma_scale_f32_16x16x128_f8f6f4 a[84:87], v[144:147], v[100:103], a[84:87], v192, v189 op_sel_hi:[0,0,0] cbsz:4 blgp:4// 0000000042B0: D3AC7000 18037BC0 D3AD8C54 8552C990
	buffer_load_dwordx4 v[128:131], v209, s[16:19], 0 offen offset:1024// 0000000042C0: E05C1400 800480D1
	v_mfma_scale_f32_16x16x128_f8f6f4 a[88:91], v[148:151], v[96:99], a[88:91], v192, v189 op_sel_hi:[0,0,0] cbsz:4 blgp:4// 0000000042C8: D3AC6800 18037BC0 D3AD8C58 8562C194
	ds_read_b128 v[20:23], v204 offset:576                     // 0000000042D8: D9FE0240 140000CC
	v_mfma_scale_f32_16x16x128_f8f6f4 a[92:95], v[148:151], v[100:103], a[92:95], v192, v189 op_sel_hi:[0,0,0] cbsz:4 blgp:4// 0000000042E0: D3AC7800 18037BC0 D3AD8C5C 8572C994
	ds_read_b32 v184, v208 offset:4096                         // 0000000042F0: D86C1000 B80000D0
	s_waitcnt lgkmcnt(5)                                       // 0000000042F8: BF8CC57F
	v_mfma_scale_f32_16x16x128_f8f6f4 a[96:99], v[136:139], v[104:107], a[96:99], v192, v190 op_sel_hi:[0,0,0] cbsz:4 blgp:4// 0000000042FC: D3AC6000 00037DC0 D3AD8C60 8582D188
	ds_read_b128 v[24:27], v204 offset:4224                    // 00000000430C: D9FE1080 180000CC
	v_mfma_scale_f32_16x16x128_f8f6f4 a[100:103], v[136:139], v[108:111], a[100:103], v192, v190 op_sel_hi:[0,0,0] cbsz:4 blgp:4// 000000004314: D3AC7000 00037DC0 D3AD8C64 8592D988
	buffer_load_dwordx4 v[132:135], v210, s[16:19], 0 offen offset:1024// 000000004324: E05C1400 800484D2
	v_mfma_scale_f32_16x16x128_f8f6f4 a[104:107], v[140:143], v[104:107], a[104:107], v192, v190 op_sel_hi:[0,0,0] cbsz:4 blgp:4// 00000000432C: D3AC6800 00037DC0 D3AD8C68 85A2D18C
	ds_read_b128 v[32:35], v204 offset:4288                    // 00000000433C: D9FE10C0 200000CC
	v_mfma_scale_f32_16x16x128_f8f6f4 a[108:111], v[140:143], v[108:111], a[108:111], v192, v190 op_sel_hi:[0,0,0] cbsz:4 blgp:4// 000000004344: D3AC7800 00037DC0 D3AD8C6C 85B2D98C
	v_mfma_scale_f32_16x16x128_f8f6f4 a[96:99], v[144:147], v[112:115], a[96:99], v192, v190 op_sel_hi:[0,0,0] cbsz:4 blgp:4// 000000004354: D3AC6000 18037DC0 D3AD8C60 8582E190
	ds_read_b128 v[28:31], v204 offset:4736                    // 000000004364: D9FE1280 1C0000CC
	v_mfma_scale_f32_16x16x128_f8f6f4 a[100:103], v[144:147], v[116:119], a[100:103], v192, v190 op_sel_hi:[0,0,0] cbsz:4 blgp:4// 00000000436C: D3AC7000 18037DC0 D3AD8C64 8592E990
	buffer_load_dword v191, v211, s[24:27], 0 offen            // 00000000437C: E0501000 8006BFD3
	v_mfma_scale_f32_16x16x128_f8f6f4 a[104:107], v[148:151], v[112:115], a[104:107], v192, v190 op_sel_hi:[0,0,0] cbsz:4 blgp:4// 000000004384: D3AC6800 18037DC0 D3AD8C68 85A2E194
	s_add_u32 s16, s16, s67                                    // 000000004394: 80104310
	ds_read_b128 v[36:39], v204 offset:4800                    // 000000004398: D9FE12C0 240000CC
	v_mfma_scale_f32_16x16x128_f8f6f4 a[108:111], v[148:151], v[116:119], a[108:111], v192, v190 op_sel_hi:[0,0,0] cbsz:4 blgp:4// 0000000043A0: D3AC7800 18037DC0 D3AD8C6C 85B2E994
	s_addc_u32 s17, 0, s17                                     // 0000000043B0: 82111180
	s_sub_u32 s18, s18, s67                                    // 0000000043B4: 80924312
	ds_read_b32 v185, v208 offset:4352                         // 0000000043B8: D86C1100 B90000D0
	s_add_u32 s24, s24, s69                                    // 0000000043C0: 80184518
	s_addc_u32 s25, 0, s25                                     // 0000000043C4: 82191980
	s_sub_u32 s26, s26, s69                                    // 0000000043C8: 809A451A
	s_addk_i32 s60, 0x100                                      // 0000000043CC: B73C0100
	s_cmp_lt_i32 s60, s61                                      // 0000000043D0: BF043D3C
	s_cbranch_scc0 label_0EBA                                  // 0000000043D4: BF8408C4
	s_waitcnt vmcnt(28) lgkmcnt(5)                             // 0000000043D8: BF8C457C
	s_barrier                                                  // 0000000043DC: BF8A0000
	v_mfma_scale_f32_16x16x128_f8f6f4 a[0:3], v[152:155], v[8:11], a[0:3], v193, v184 op_sel_hi:[0,0,0] cbsz:4 blgp:4// 0000000043E0: D3AC6000 000371C1 D3AD8C00 84021198
	ds_read_b128 v[40:43], v204 offset:8448                    // 0000000043F0: D9FE2100 280000CC
	v_mfma_scale_f32_16x16x128_f8f6f4 a[4:7], v[152:155], v[12:15], a[4:7], v193, v184 op_sel_hi:[0,0,0] cbsz:4 blgp:4// 0000000043F8: D3AC7000 000371C1 D3AD8C04 84121998
	s_add_u32 m0, 0x800, s65                                   // 000000004408: 807C41FF 00000800
	buffer_load_dword v206, s[20:23], 0 offen lds              // 000000004410: E0511000 800500CE
	v_mfma_scale_f32_16x16x128_f8f6f4 a[8:11], v[156:159], v[8:11], a[8:11], v193, v184 op_sel_hi:[0,0,0] cbsz:4 blgp:4// 000000004418: D3AC6800 000371C1 D3AD8C08 8422119C
	ds_read_b128 v[48:51], v204 offset:8512                    // 000000004428: D9FE2140 300000CC
	v_mfma_scale_f32_16x16x128_f8f6f4 a[12:15], v[156:159], v[12:15], a[12:15], v193, v184 op_sel_hi:[0,0,0] cbsz:4 blgp:4// 000000004430: D3AC7800 000371C1 D3AD8C0C 8432199C
	v_mfma_scale_f32_16x16x128_f8f6f4 a[0:3], v[160:163], v[16:19], a[0:3], v193, v184 op_sel_hi:[0,0,0] cbsz:4 blgp:4// 000000004440: D3AC6000 180371C1 D3AD8C00 840221A0
	ds_read_b128 v[44:47], v204 offset:8960                    // 000000004450: D9FE2300 2C0000CC
	v_mfma_scale_f32_16x16x128_f8f6f4 a[4:7], v[160:163], v[20:23], a[4:7], v193, v184 op_sel_hi:[0,0,0] cbsz:4 blgp:4// 000000004458: D3AC7000 180371C1 D3AD8C04 841229A0
	s_add_u32 m0, 0xc00, s65                                   // 000000004468: 807C41FF 00000C00
	buffer_load_dword v207, s[20:23], 0 offen lds              // 000000004470: E0511000 800500CF
	v_mfma_scale_f32_16x16x128_f8f6f4 a[8:11], v[164:167], v[16:19], a[8:11], v193, v184 op_sel_hi:[0,0,0] cbsz:4 blgp:4// 000000004478: D3AC6800 180371C1 D3AD8C08 842221A4
	ds_read_b128 v[52:55], v204 offset:9024                    // 000000004488: D9FE2340 340000CC
	v_mfma_scale_f32_16x16x128_f8f6f4 a[12:15], v[164:167], v[20:23], a[12:15], v193, v184 op_sel_hi:[0,0,0] cbsz:4 blgp:4// 000000004490: D3AC7800 180371C1 D3AD8C0C 843229A4
	ds_read_b32 v186, v208 offset:4608                         // 0000000044A0: D86C1200 BA0000D0
	s_waitcnt lgkmcnt(5)                                       // 0000000044A8: BF8CC57F
	v_mfma_scale_f32_16x16x128_f8f6f4 a[16:19], v[152:155], v[24:27], a[16:19], v193, v185 op_sel_hi:[0,0,0] cbsz:4 blgp:4// 0000000044AC: D3AC6000 000373C1 D3AD8C10 84423198
	ds_read_b128 v[56:59], v204 offset:12672                   // 0000000044BC: D9FE3180 380000CC
	v_mfma_scale_f32_16x16x128_f8f6f4 a[20:23], v[152:155], v[28:31], a[20:23], v193, v185 op_sel_hi:[0,0,0] cbsz:4 blgp:4// 0000000044C4: D3AC7000 000373C1 D3AD8C14 84523998
	s_add_u32 m0, 0x7380, s64                                  // 0000000044D4: 807C40FF 00007380
	buffer_load_dwordx4 v195, s[12:15], 0 offen lds            // 0000000044DC: E05D1000 800300C3
	v_mfma_scale_f32_16x16x128_f8f6f4 a[24:27], v[156:159], v[24:27], a[24:27], v193, v185 op_sel_hi:[0,0,0] cbsz:4 blgp:4// 0000000044E4: D3AC6800 000373C1 D3AD8C18 8462319C
	ds_read_b128 v[64:67], v204 offset:12736                   // 0000000044F4: D9FE31C0 400000CC
	v_mfma_scale_f32_16x16x128_f8f6f4 a[28:31], v[156:159], v[28:31], a[28:31], v193, v185 op_sel_hi:[0,0,0] cbsz:4 blgp:4// 0000000044FC: D3AC7800 000373C1 D3AD8C1C 8472399C
	v_mfma_scale_f32_16x16x128_f8f6f4 a[16:19], v[160:163], v[32:35], a[16:19], v193, v185 op_sel_hi:[0,0,0] cbsz:4 blgp:4// 00000000450C: D3AC6000 180373C1 D3AD8C10 844241A0
	ds_read_b128 v[60:63], v204 offset:13184                   // 00000000451C: D9FE3380 3C0000CC
	v_mfma_scale_f32_16x16x128_f8f6f4 a[20:23], v[160:163], v[36:39], a[20:23], v193, v185 op_sel_hi:[0,0,0] cbsz:4 blgp:4// 000000004524: D3AC7000 180373C1 D3AD8C14 845249A0
	s_add_u32 m0, 0x8400, s64                                  // 000000004534: 807C40FF 00008400
	buffer_load_dwordx4 v196, s[12:15], 0 offen lds            // 00000000453C: E05D1000 800300C4
	v_mfma_scale_f32_16x16x128_f8f6f4 a[24:27], v[164:167], v[32:35], a[24:27], v193, v185 op_sel_hi:[0,0,0] cbsz:4 blgp:4// 000000004544: D3AC6800 180373C1 D3AD8C18 846241A4
	ds_read_b128 v[68:71], v204 offset:13248                   // 000000004554: D9FE33C0 440000CC
	v_mfma_scale_f32_16x16x128_f8f6f4 a[28:31], v[164:167], v[36:39], a[28:31], v193, v185 op_sel_hi:[0,0,0] cbsz:4 blgp:4// 00000000455C: D3AC7800 180373C1 D3AD8C1C 847249A4
	ds_read_b32 v187, v208 offset:4864                         // 00000000456C: D86C1300 BB0000D0
	s_waitcnt lgkmcnt(5)                                       // 000000004574: BF8CC57F
	v_mfma_scale_f32_16x16x128_f8f6f4 a[32:35], v[152:155], v[40:43], a[32:35], v193, v186 op_sel_hi:[0,0,0] cbsz:4 blgp:4// 000000004578: D3AC6000 000375C1 D3AD8C20 84825198
	ds_read_b128 v[72:75], v204 offset:16896                   // 000000004588: D9FE4200 480000CC
	v_mfma_scale_f32_16x16x128_f8f6f4 a[36:39], v[152:155], v[44:47], a[36:39], v193, v186 op_sel_hi:[0,0,0] cbsz:4 blgp:4// 000000004590: D3AC7000 000375C1 D3AD8C24 84925998
	s_add_u32 m0, 0x9480, s64                                  // 0000000045A0: 807C40FF 00009480
	buffer_load_dwordx4 v197, s[12:15], 0 offen lds            // 0000000045A8: E05D1000 800300C5
	v_mfma_scale_f32_16x16x128_f8f6f4 a[40:43], v[156:159], v[40:43], a[40:43], v193, v186 op_sel_hi:[0,0,0] cbsz:4 blgp:4// 0000000045B0: D3AC6800 000375C1 D3AD8C28 84A2519C
	ds_read_b128 v[80:83], v204 offset:16960                   // 0000000045C0: D9FE4240 500000CC
	v_mfma_scale_f32_16x16x128_f8f6f4 a[44:47], v[156:159], v[44:47], a[44:47], v193, v186 op_sel_hi:[0,0,0] cbsz:4 blgp:4// 0000000045C8: D3AC7800 000375C1 D3AD8C2C 84B2599C
	v_mfma_scale_f32_16x16x128_f8f6f4 a[32:35], v[160:163], v[48:51], a[32:35], v193, v186 op_sel_hi:[0,0,0] cbsz:4 blgp:4// 0000000045D8: D3AC6000 180375C1 D3AD8C20 848261A0
	ds_read_b128 v[76:79], v204 offset:17408                   // 0000000045E8: D9FE4400 4C0000CC
	v_mfma_scale_f32_16x16x128_f8f6f4 a[36:39], v[160:163], v[52:55], a[36:39], v193, v186 op_sel_hi:[0,0,0] cbsz:4 blgp:4// 0000000045F0: D3AC7000 180375C1 D3AD8C24 849269A0
	s_add_u32 m0, 0xa500, s64                                  // 000000004600: 807C40FF 0000A500
	buffer_load_dwordx4 v198, s[12:15], 0 offen lds            // 000000004608: E05D1000 800300C6
	v_mfma_scale_f32_16x16x128_f8f6f4 a[40:43], v[164:167], v[48:51], a[40:43], v193, v186 op_sel_hi:[0,0,0] cbsz:4 blgp:4// 000000004610: D3AC6800 180375C1 D3AD8C28 84A261A4
	ds_read_b128 v[84:87], v204 offset:17472                   // 000000004620: D9FE4440 540000CC
	v_mfma_scale_f32_16x16x128_f8f6f4 a[44:47], v[164:167], v[52:55], a[44:47], v193, v186 op_sel_hi:[0,0,0] cbsz:4 blgp:4// 000000004628: D3AC7800 180375C1 D3AD8C2C 84B269A4
	ds_read_b32 v188, v208 offset:5120                         // 000000004638: D86C1400 BC0000D0
	s_waitcnt lgkmcnt(5)                                       // 000000004640: BF8CC57F
	v_mfma_scale_f32_16x16x128_f8f6f4 a[48:51], v[152:155], v[56:59], a[48:51], v193, v187 op_sel_hi:[0,0,0] cbsz:4 blgp:4// 000000004644: D3AC6000 000377C1 D3AD8C30 84C27198
	ds_read_b128 v[88:91], v204 offset:21120                   // 000000004654: D9FE5280 580000CC
	v_mfma_scale_f32_16x16x128_f8f6f4 a[52:55], v[152:155], v[60:63], a[52:55], v193, v187 op_sel_hi:[0,0,0] cbsz:4 blgp:4// 00000000465C: D3AC7000 000377C1 D3AD8C34 84D27998
	s_add_u32 m0, 0xb580, s64                                  // 00000000466C: 807C40FF 0000B580
	buffer_load_dwordx4 v199, s[12:15], 0 offen lds            // 000000004674: E05D1000 800300C7
	v_mfma_scale_f32_16x16x128_f8f6f4 a[56:59], v[156:159], v[56:59], a[56:59], v193, v187 op_sel_hi:[0,0,0] cbsz:4 blgp:4// 00000000467C: D3AC6800 000377C1 D3AD8C38 84E2719C
	ds_read_b128 v[96:99], v204 offset:21184                   // 00000000468C: D9FE52C0 600000CC
	v_mfma_scale_f32_16x16x128_f8f6f4 a[60:63], v[156:159], v[60:63], a[60:63], v193, v187 op_sel_hi:[0,0,0] cbsz:4 blgp:4// 000000004694: D3AC7800 000377C1 D3AD8C3C 84F2799C
	v_mfma_scale_f32_16x16x128_f8f6f4 a[48:51], v[160:163], v[64:67], a[48:51], v193, v187 op_sel_hi:[0,0,0] cbsz:4 blgp:4// 0000000046A4: D3AC6000 180377C1 D3AD8C30 84C281A0
	ds_read_b128 v[92:95], v204 offset:21632                   // 0000000046B4: D9FE5480 5C0000CC
	v_mfma_scale_f32_16x16x128_f8f6f4 a[52:55], v[160:163], v[68:71], a[52:55], v193, v187 op_sel_hi:[0,0,0] cbsz:4 blgp:4// 0000000046BC: D3AC7000 180377C1 D3AD8C34 84D289A0
	s_add_u32 m0, 0xc600, s64                                  // 0000000046CC: 807C40FF 0000C600
	buffer_load_dwordx4 v200, s[12:15], 0 offen lds            // 0000000046D4: E05D1000 800300C8
	v_mfma_scale_f32_16x16x128_f8f6f4 a[56:59], v[164:167], v[64:67], a[56:59], v193, v187 op_sel_hi:[0,0,0] cbsz:4 blgp:4// 0000000046DC: D3AC6800 180377C1 D3AD8C38 84E281A4
	ds_read_b128 v[100:103], v204 offset:21696                 // 0000000046EC: D9FE54C0 640000CC
	v_mfma_scale_f32_16x16x128_f8f6f4 a[60:63], v[164:167], v[68:71], a[60:63], v193, v187 op_sel_hi:[0,0,0] cbsz:4 blgp:4// 0000000046F4: D3AC7800 180377C1 D3AD8C3C 84F289A4
	ds_read_b32 v189, v208 offset:5376                         // 000000004704: D86C1500 BD0000D0
	s_waitcnt lgkmcnt(5)                                       // 00000000470C: BF8CC57F
	v_mfma_scale_f32_16x16x128_f8f6f4 a[64:67], v[152:155], v[72:75], a[64:67], v193, v188 op_sel_hi:[0,0,0] cbsz:4 blgp:4// 000000004710: D3AC6000 000379C1 D3AD8C40 85029198
	ds_read_b128 v[104:107], v204 offset:25344                 // 000000004720: D9FE6300 680000CC
	v_mfma_scale_f32_16x16x128_f8f6f4 a[68:71], v[152:155], v[76:79], a[68:71], v193, v188 op_sel_hi:[0,0,0] cbsz:4 blgp:4// 000000004728: D3AC7000 000379C1 D3AD8C44 85129998
	s_add_u32 m0, 0xd680, s64                                  // 000000004738: 807C40FF 0000D680
	buffer_load_dwordx4 v201, s[12:15], 0 offen lds            // 000000004740: E05D1000 800300C9
	v_mfma_scale_f32_16x16x128_f8f6f4 a[72:75], v[156:159], v[72:75], a[72:75], v193, v188 op_sel_hi:[0,0,0] cbsz:4 blgp:4// 000000004748: D3AC6800 000379C1 D3AD8C48 8522919C
	s_add_u32 s62, 0x400, s60                                  // 000000004758: 803E3CFF 00000400
	ds_read_b128 v[112:115], v204 offset:25408                 // 000000004760: D9FE6340 700000CC
	v_mfma_scale_f32_16x16x128_f8f6f4 a[76:79], v[156:159], v[76:79], a[76:79], v193, v188 op_sel_hi:[0,0,0] cbsz:4 blgp:4// 000000004768: D3AC7800 000379C1 D3AD8C4C 8532999C
	s_cmp_lt_u32 s62, s61                                      // 000000004778: BF0A3D3E
	s_cselect_b32 s66, s66, 0                                  // 00000000477C: 85428042
	v_mfma_scale_f32_16x16x128_f8f6f4 a[64:67], v[160:163], v[80:83], a[64:67], v193, v188 op_sel_hi:[0,0,0] cbsz:4 blgp:4// 000000004780: D3AC6000 180379C1 D3AD8C40 8502A1A0
	s_cselect_b32 s68, s68, 0                                  // 000000004790: 85448044
	ds_read_b128 v[108:111], v204 offset:25856                 // 000000004794: D9FE6500 6C0000CC
	v_mfma_scale_f32_16x16x128_f8f6f4 a[68:71], v[160:163], v[84:87], a[68:71], v193, v188 op_sel_hi:[0,0,0] cbsz:4 blgp:4// 00000000479C: D3AC7000 180379C1 D3AD8C44 8512A9A0
	s_add_u32 s12, s12, s66                                    // 0000000047AC: 800C420C
	buffer_load_dwordx4 v[136:139], v209, s[16:19], 0 offen    // 0000000047B0: E05C1000 800488D1
	v_mfma_scale_f32_16x16x128_f8f6f4 a[72:75], v[164:167], v[80:83], a[72:75], v193, v188 op_sel_hi:[0,0,0] cbsz:4 blgp:4// 0000000047B8: D3AC6800 180379C1 D3AD8C48 8522A1A4
	s_addc_u32 s13, 0, s13                                     // 0000000047C8: 820D0D80
	ds_read_b128 v[116:119], v204 offset:25920                 // 0000000047CC: D9FE6540 740000CC
	v_mfma_scale_f32_16x16x128_f8f6f4 a[76:79], v[164:167], v[84:87], a[76:79], v193, v188 op_sel_hi:[0,0,0] cbsz:4 blgp:4// 0000000047D4: D3AC7800 180379C1 D3AD8C4C 8532A9A4
	s_sub_u32 s14, s14, s66                                    // 0000000047E4: 808E420E
	s_add_u32 s20, s20, s68                                    // 0000000047E8: 80144414
	ds_read_b32 v190, v208 offset:5632                         // 0000000047EC: D86C1600 BE0000D0
	s_waitcnt vmcnt(34) lgkmcnt(5)                             // 0000000047F4: BF8C8572
	s_barrier                                                  // 0000000047F8: BF8A0000
	v_mfma_scale_f32_16x16x128_f8f6f4 a[80:83], v[152:155], v[88:91], a[80:83], v193, v189 op_sel_hi:[0,0,0] cbsz:4 blgp:4// 0000000047FC: D3AC6000 00037BC1 D3AD8C50 8542B198
	s_addc_u32 s21, 0, s21                                     // 00000000480C: 82151580
	ds_read_b128 v[8:11], v205                                 // 000000004810: D9FE0000 080000CD
	v_mfma_scale_f32_16x16x128_f8f6f4 a[84:87], v[152:155], v[92:95], a[84:87], v193, v189 op_sel_hi:[0,0,0] cbsz:4 blgp:4// 000000004818: D3AC7000 00037BC1 D3AD8C54 8552B998
	s_sub_u32 s22, s22, s68                                    // 000000004828: 80964416
	buffer_load_dwordx4 v[140:143], v210, s[16:19], 0 offen    // 00000000482C: E05C1000 80048CD2
	v_mfma_scale_f32_16x16x128_f8f6f4 a[88:91], v[156:159], v[88:91], a[88:91], v193, v189 op_sel_hi:[0,0,0] cbsz:4 blgp:4// 000000004834: D3AC6800 00037BC1 D3AD8C58 8562B19C
	s_add_u32 s63, 0x400, s60                                  // 000000004844: 803F3CFF 00000400
	ds_read_b128 v[16:19], v205 offset:64                      // 00000000484C: D9FE0040 100000CD
	v_mfma_scale_f32_16x16x128_f8f6f4 a[92:95], v[156:159], v[92:95], a[92:95], v193, v189 op_sel_hi:[0,0,0] cbsz:4 blgp:4// 000000004854: D3AC7800 00037BC1 D3AD8C5C 8572B99C
	s_cmp_lt_u32 s63, s61                                      // 000000004864: BF0A3D3F
	s_cselect_b32 s67, s67, 0                                  // 000000004868: 85438043
	v_mfma_scale_f32_16x16x128_f8f6f4 a[80:83], v[160:163], v[96:99], a[80:83], v193, v189 op_sel_hi:[0,0,0] cbsz:4 blgp:4// 00000000486C: D3AC6000 18037BC1 D3AD8C50 8542C1A0
	s_cselect_b32 s69, s69, 0                                  // 00000000487C: 85458045
	ds_read_b128 v[12:15], v205 offset:512                     // 000000004880: D9FE0200 0C0000CD
	v_mfma_scale_f32_16x16x128_f8f6f4 a[84:87], v[160:163], v[100:103], a[84:87], v193, v189 op_sel_hi:[0,0,0] cbsz:4 blgp:4// 000000004888: D3AC7000 18037BC1 D3AD8C54 8552C9A0
	buffer_load_dwordx4 v[144:147], v209, s[16:19], 0 offen offset:1024// 000000004898: E05C1400 800490D1
	v_mfma_scale_f32_16x16x128_f8f6f4 a[88:91], v[164:167], v[96:99], a[88:91], v193, v189 op_sel_hi:[0,0,0] cbsz:4 blgp:4// 0000000048A0: D3AC6800 18037BC1 D3AD8C58 8562C1A4
	ds_read_b128 v[20:23], v205 offset:576                     // 0000000048B0: D9FE0240 140000CD
	v_mfma_scale_f32_16x16x128_f8f6f4 a[92:95], v[164:167], v[100:103], a[92:95], v193, v189 op_sel_hi:[0,0,0] cbsz:4 blgp:4// 0000000048B8: D3AC7800 18037BC1 D3AD8C5C 8572C9A4
	ds_read_b32 v184, v208 offset:6144                         // 0000000048C8: D86C1800 B80000D0
	s_waitcnt lgkmcnt(5)                                       // 0000000048D0: BF8CC57F
	v_mfma_scale_f32_16x16x128_f8f6f4 a[96:99], v[152:155], v[104:107], a[96:99], v193, v190 op_sel_hi:[0,0,0] cbsz:4 blgp:4// 0000000048D4: D3AC6000 00037DC1 D3AD8C60 8582D198
	ds_read_b128 v[24:27], v205 offset:4224                    // 0000000048E4: D9FE1080 180000CD
	v_mfma_scale_f32_16x16x128_f8f6f4 a[100:103], v[152:155], v[108:111], a[100:103], v193, v190 op_sel_hi:[0,0,0] cbsz:4 blgp:4// 0000000048EC: D3AC7000 00037DC1 D3AD8C64 8592D998
	buffer_load_dwordx4 v[148:151], v210, s[16:19], 0 offen offset:1024// 0000000048FC: E05C1400 800494D2
	v_mfma_scale_f32_16x16x128_f8f6f4 a[104:107], v[156:159], v[104:107], a[104:107], v193, v190 op_sel_hi:[0,0,0] cbsz:4 blgp:4// 000000004904: D3AC6800 00037DC1 D3AD8C68 85A2D19C
	ds_read_b128 v[32:35], v205 offset:4288                    // 000000004914: D9FE10C0 200000CD
	v_mfma_scale_f32_16x16x128_f8f6f4 a[108:111], v[156:159], v[108:111], a[108:111], v193, v190 op_sel_hi:[0,0,0] cbsz:4 blgp:4// 00000000491C: D3AC7800 00037DC1 D3AD8C6C 85B2D99C
	v_mfma_scale_f32_16x16x128_f8f6f4 a[96:99], v[160:163], v[112:115], a[96:99], v193, v190 op_sel_hi:[0,0,0] cbsz:4 blgp:4// 00000000492C: D3AC6000 18037DC1 D3AD8C60 8582E1A0
	ds_read_b128 v[28:31], v205 offset:4736                    // 00000000493C: D9FE1280 1C0000CD
	v_mfma_scale_f32_16x16x128_f8f6f4 a[100:103], v[160:163], v[116:119], a[100:103], v193, v190 op_sel_hi:[0,0,0] cbsz:4 blgp:4// 000000004944: D3AC7000 18037DC1 D3AD8C64 8592E9A0
	buffer_load_dword v192, v211, s[24:27], 0 offen            // 000000004954: E0501000 8006C0D3
	v_mfma_scale_f32_16x16x128_f8f6f4 a[104:107], v[164:167], v[112:115], a[104:107], v193, v190 op_sel_hi:[0,0,0] cbsz:4 blgp:4// 00000000495C: D3AC6800 18037DC1 D3AD8C68 85A2E1A4
	s_add_u32 s16, s16, s67                                    // 00000000496C: 80104310
	ds_read_b128 v[36:39], v205 offset:4800                    // 000000004970: D9FE12C0 240000CD
	v_mfma_scale_f32_16x16x128_f8f6f4 a[108:111], v[164:167], v[116:119], a[108:111], v193, v190 op_sel_hi:[0,0,0] cbsz:4 blgp:4// 000000004978: D3AC7800 18037DC1 D3AD8C6C 85B2E9A4
	s_addc_u32 s17, 0, s17                                     // 000000004988: 82111180
	s_sub_u32 s18, s18, s67                                    // 00000000498C: 80924312
	ds_read_b32 v185, v208 offset:6400                         // 000000004990: D86C1900 B90000D0
	s_add_u32 s24, s24, s69                                    // 000000004998: 80184518
	s_addc_u32 s25, 0, s25                                     // 00000000499C: 82191980
	s_sub_u32 s26, s26, s69                                    // 0000000049A0: 809A451A
	s_addk_i32 s60, 0x100                                      // 0000000049A4: B73C0100
	s_cmp_lt_i32 s60, s61                                      // 0000000049A8: BF043D3C
	s_cbranch_scc0 label_0EBA                                  // 0000000049AC: BF84074E
	s_waitcnt vmcnt(28) lgkmcnt(5)                             // 0000000049B0: BF8C457C
	s_barrier                                                  // 0000000049B4: BF8A0000
	v_mfma_scale_f32_16x16x128_f8f6f4 a[0:3], v[168:171], v[8:11], a[0:3], v194, v184 op_sel_hi:[0,0,0] cbsz:4 blgp:4// 0000000049B8: D3AC6000 000371C2 D3AD8C00 840211A8
	ds_read_b128 v[40:43], v205 offset:8448                    // 0000000049C8: D9FE2100 280000CD
	v_mfma_scale_f32_16x16x128_f8f6f4 a[4:7], v[168:171], v[12:15], a[4:7], v194, v184 op_sel_hi:[0,0,0] cbsz:4 blgp:4// 0000000049D0: D3AC7000 000371C2 D3AD8C04 841219A8
	s_add_u32 m0, 0x1000, s65                                  // 0000000049E0: 807C41FF 00001000
	buffer_load_dword v206, s[20:23], 0 offen lds              // 0000000049E8: E0511000 800500CE
	v_mfma_scale_f32_16x16x128_f8f6f4 a[8:11], v[172:175], v[8:11], a[8:11], v194, v184 op_sel_hi:[0,0,0] cbsz:4 blgp:4// 0000000049F0: D3AC6800 000371C2 D3AD8C08 842211AC
	ds_read_b128 v[48:51], v205 offset:8512                    // 000000004A00: D9FE2140 300000CD
	v_mfma_scale_f32_16x16x128_f8f6f4 a[12:15], v[172:175], v[12:15], a[12:15], v194, v184 op_sel_hi:[0,0,0] cbsz:4 blgp:4// 000000004A08: D3AC7800 000371C2 D3AD8C0C 843219AC
	v_mfma_scale_f32_16x16x128_f8f6f4 a[0:3], v[176:179], v[16:19], a[0:3], v194, v184 op_sel_hi:[0,0,0] cbsz:4 blgp:4// 000000004A18: D3AC6000 180371C2 D3AD8C00 840221B0
	ds_read_b128 v[44:47], v205 offset:8960                    // 000000004A28: D9FE2300 2C0000CD
	v_mfma_scale_f32_16x16x128_f8f6f4 a[4:7], v[176:179], v[20:23], a[4:7], v194, v184 op_sel_hi:[0,0,0] cbsz:4 blgp:4// 000000004A30: D3AC7000 180371C2 D3AD8C04 841229B0
	s_add_u32 m0, 0x1400, s65                                  // 000000004A40: 807C41FF 00001400
	buffer_load_dword v207, s[20:23], 0 offen lds              // 000000004A48: E0511000 800500CF
	v_mfma_scale_f32_16x16x128_f8f6f4 a[8:11], v[180:183], v[16:19], a[8:11], v194, v184 op_sel_hi:[0,0,0] cbsz:4 blgp:4// 000000004A50: D3AC6800 180371C2 D3AD8C08 842221B4
	ds_read_b128 v[52:55], v205 offset:9024                    // 000000004A60: D9FE2340 340000CD
	v_mfma_scale_f32_16x16x128_f8f6f4 a[12:15], v[180:183], v[20:23], a[12:15], v194, v184 op_sel_hi:[0,0,0] cbsz:4 blgp:4// 000000004A68: D3AC7800 180371C2 D3AD8C0C 843229B4
	ds_read_b32 v186, v208 offset:6656                         // 000000004A78: D86C1A00 BA0000D0
	s_waitcnt lgkmcnt(5)                                       // 000000004A80: BF8CC57F
	v_mfma_scale_f32_16x16x128_f8f6f4 a[16:19], v[168:171], v[24:27], a[16:19], v194, v185 op_sel_hi:[0,0,0] cbsz:4 blgp:4// 000000004A84: D3AC6000 000373C2 D3AD8C10 844231A8
	ds_read_b128 v[56:59], v205 offset:12672                   // 000000004A94: D9FE3180 380000CD
	v_mfma_scale_f32_16x16x128_f8f6f4 a[20:23], v[168:171], v[28:31], a[20:23], v194, v185 op_sel_hi:[0,0,0] cbsz:4 blgp:4// 000000004A9C: D3AC7000 000373C2 D3AD8C14 845239A8
	s_add_u32 m0, 0xe700, s64                                  // 000000004AAC: 807C40FF 0000E700
	buffer_load_dwordx4 v195, s[12:15], 0 offen lds            // 000000004AB4: E05D1000 800300C3
	v_mfma_scale_f32_16x16x128_f8f6f4 a[24:27], v[172:175], v[24:27], a[24:27], v194, v185 op_sel_hi:[0,0,0] cbsz:4 blgp:4// 000000004ABC: D3AC6800 000373C2 D3AD8C18 846231AC
	ds_read_b128 v[64:67], v205 offset:12736                   // 000000004ACC: D9FE31C0 400000CD
	v_mfma_scale_f32_16x16x128_f8f6f4 a[28:31], v[172:175], v[28:31], a[28:31], v194, v185 op_sel_hi:[0,0,0] cbsz:4 blgp:4// 000000004AD4: D3AC7800 000373C2 D3AD8C1C 847239AC
	v_mfma_scale_f32_16x16x128_f8f6f4 a[16:19], v[176:179], v[32:35], a[16:19], v194, v185 op_sel_hi:[0,0,0] cbsz:4 blgp:4// 000000004AE4: D3AC6000 180373C2 D3AD8C10 844241B0
	ds_read_b128 v[60:63], v205 offset:13184                   // 000000004AF4: D9FE3380 3C0000CD
	v_mfma_scale_f32_16x16x128_f8f6f4 a[20:23], v[176:179], v[36:39], a[20:23], v194, v185 op_sel_hi:[0,0,0] cbsz:4 blgp:4// 000000004AFC: D3AC7000 180373C2 D3AD8C14 845249B0
	s_add_u32 m0, 0xf780, s64                                  // 000000004B0C: 807C40FF 0000F780
	buffer_load_dwordx4 v196, s[12:15], 0 offen lds            // 000000004B14: E05D1000 800300C4
	v_mfma_scale_f32_16x16x128_f8f6f4 a[24:27], v[180:183], v[32:35], a[24:27], v194, v185 op_sel_hi:[0,0,0] cbsz:4 blgp:4// 000000004B1C: D3AC6800 180373C2 D3AD8C18 846241B4
	ds_read_b128 v[68:71], v205 offset:13248                   // 000000004B2C: D9FE33C0 440000CD
	v_mfma_scale_f32_16x16x128_f8f6f4 a[28:31], v[180:183], v[36:39], a[28:31], v194, v185 op_sel_hi:[0,0,0] cbsz:4 blgp:4// 000000004B34: D3AC7800 180373C2 D3AD8C1C 847249B4
	ds_read_b32 v187, v208 offset:6912                         // 000000004B44: D86C1B00 BB0000D0
	s_waitcnt lgkmcnt(5)                                       // 000000004B4C: BF8CC57F
	v_mfma_scale_f32_16x16x128_f8f6f4 a[32:35], v[168:171], v[40:43], a[32:35], v194, v186 op_sel_hi:[0,0,0] cbsz:4 blgp:4// 000000004B50: D3AC6000 000375C2 D3AD8C20 848251A8
	ds_read_b128 v[72:75], v205 offset:16896                   // 000000004B60: D9FE4200 480000CD
	v_mfma_scale_f32_16x16x128_f8f6f4 a[36:39], v[168:171], v[44:47], a[36:39], v194, v186 op_sel_hi:[0,0,0] cbsz:4 blgp:4// 000000004B68: D3AC7000 000375C2 D3AD8C24 849259A8
	s_add_u32 m0, 0x10800, s64                                 // 000000004B78: 807C40FF 00010800
	buffer_load_dwordx4 v197, s[12:15], 0 offen lds            // 000000004B80: E05D1000 800300C5
	v_mfma_scale_f32_16x16x128_f8f6f4 a[40:43], v[172:175], v[40:43], a[40:43], v194, v186 op_sel_hi:[0,0,0] cbsz:4 blgp:4// 000000004B88: D3AC6800 000375C2 D3AD8C28 84A251AC
	ds_read_b128 v[80:83], v205 offset:16960                   // 000000004B98: D9FE4240 500000CD
	v_mfma_scale_f32_16x16x128_f8f6f4 a[44:47], v[172:175], v[44:47], a[44:47], v194, v186 op_sel_hi:[0,0,0] cbsz:4 blgp:4// 000000004BA0: D3AC7800 000375C2 D3AD8C2C 84B259AC
	v_mfma_scale_f32_16x16x128_f8f6f4 a[32:35], v[176:179], v[48:51], a[32:35], v194, v186 op_sel_hi:[0,0,0] cbsz:4 blgp:4// 000000004BB0: D3AC6000 180375C2 D3AD8C20 848261B0
	ds_read_b128 v[76:79], v205 offset:17408                   // 000000004BC0: D9FE4400 4C0000CD
	v_mfma_scale_f32_16x16x128_f8f6f4 a[36:39], v[176:179], v[52:55], a[36:39], v194, v186 op_sel_hi:[0,0,0] cbsz:4 blgp:4// 000000004BC8: D3AC7000 180375C2 D3AD8C24 849269B0
	s_add_u32 m0, 0x11880, s64                                 // 000000004BD8: 807C40FF 00011880
	buffer_load_dwordx4 v198, s[12:15], 0 offen lds            // 000000004BE0: E05D1000 800300C6
	v_mfma_scale_f32_16x16x128_f8f6f4 a[40:43], v[180:183], v[48:51], a[40:43], v194, v186 op_sel_hi:[0,0,0] cbsz:4 blgp:4// 000000004BE8: D3AC6800 180375C2 D3AD8C28 84A261B4
	ds_read_b128 v[84:87], v205 offset:17472                   // 000000004BF8: D9FE4440 540000CD
	v_mfma_scale_f32_16x16x128_f8f6f4 a[44:47], v[180:183], v[52:55], a[44:47], v194, v186 op_sel_hi:[0,0,0] cbsz:4 blgp:4// 000000004C00: D3AC7800 180375C2 D3AD8C2C 84B269B4
	ds_read_b32 v188, v208 offset:7168                         // 000000004C10: D86C1C00 BC0000D0
	s_waitcnt lgkmcnt(5)                                       // 000000004C18: BF8CC57F
	v_mfma_scale_f32_16x16x128_f8f6f4 a[48:51], v[168:171], v[56:59], a[48:51], v194, v187 op_sel_hi:[0,0,0] cbsz:4 blgp:4// 000000004C1C: D3AC6000 000377C2 D3AD8C30 84C271A8
	ds_read_b128 v[88:91], v205 offset:21120                   // 000000004C2C: D9FE5280 580000CD
	v_mfma_scale_f32_16x16x128_f8f6f4 a[52:55], v[168:171], v[60:63], a[52:55], v194, v187 op_sel_hi:[0,0,0] cbsz:4 blgp:4// 000000004C34: D3AC7000 000377C2 D3AD8C34 84D279A8
	s_add_u32 m0, 0x12900, s64                                 // 000000004C44: 807C40FF 00012900
	buffer_load_dwordx4 v199, s[12:15], 0 offen lds            // 000000004C4C: E05D1000 800300C7
	v_mfma_scale_f32_16x16x128_f8f6f4 a[56:59], v[172:175], v[56:59], a[56:59], v194, v187 op_sel_hi:[0,0,0] cbsz:4 blgp:4// 000000004C54: D3AC6800 000377C2 D3AD8C38 84E271AC
	ds_read_b128 v[96:99], v205 offset:21184                   // 000000004C64: D9FE52C0 600000CD
	v_mfma_scale_f32_16x16x128_f8f6f4 a[60:63], v[172:175], v[60:63], a[60:63], v194, v187 op_sel_hi:[0,0,0] cbsz:4 blgp:4// 000000004C6C: D3AC7800 000377C2 D3AD8C3C 84F279AC
	v_mfma_scale_f32_16x16x128_f8f6f4 a[48:51], v[176:179], v[64:67], a[48:51], v194, v187 op_sel_hi:[0,0,0] cbsz:4 blgp:4// 000000004C7C: D3AC6000 180377C2 D3AD8C30 84C281B0
	ds_read_b128 v[92:95], v205 offset:21632                   // 000000004C8C: D9FE5480 5C0000CD
	v_mfma_scale_f32_16x16x128_f8f6f4 a[52:55], v[176:179], v[68:71], a[52:55], v194, v187 op_sel_hi:[0,0,0] cbsz:4 blgp:4// 000000004C94: D3AC7000 180377C2 D3AD8C34 84D289B0
	s_add_u32 m0, 0x13980, s64                                 // 000000004CA4: 807C40FF 00013980
	buffer_load_dwordx4 v200, s[12:15], 0 offen lds            // 000000004CAC: E05D1000 800300C8
	v_mfma_scale_f32_16x16x128_f8f6f4 a[56:59], v[180:183], v[64:67], a[56:59], v194, v187 op_sel_hi:[0,0,0] cbsz:4 blgp:4// 000000004CB4: D3AC6800 180377C2 D3AD8C38 84E281B4
	ds_read_b128 v[100:103], v205 offset:21696                 // 000000004CC4: D9FE54C0 640000CD
	v_mfma_scale_f32_16x16x128_f8f6f4 a[60:63], v[180:183], v[68:71], a[60:63], v194, v187 op_sel_hi:[0,0,0] cbsz:4 blgp:4// 000000004CCC: D3AC7800 180377C2 D3AD8C3C 84F289B4
	ds_read_b32 v189, v208 offset:7424                         // 000000004CDC: D86C1D00 BD0000D0
	s_waitcnt lgkmcnt(5)                                       // 000000004CE4: BF8CC57F
	v_mfma_scale_f32_16x16x128_f8f6f4 a[64:67], v[168:171], v[72:75], a[64:67], v194, v188 op_sel_hi:[0,0,0] cbsz:4 blgp:4// 000000004CE8: D3AC6000 000379C2 D3AD8C40 850291A8
	ds_read_b128 v[104:107], v205 offset:25344                 // 000000004CF8: D9FE6300 680000CD
	v_mfma_scale_f32_16x16x128_f8f6f4 a[68:71], v[168:171], v[76:79], a[68:71], v194, v188 op_sel_hi:[0,0,0] cbsz:4 blgp:4// 000000004D00: D3AC7000 000379C2 D3AD8C44 851299A8
	s_add_u32 m0, 0x14a00, s64                                 // 000000004D10: 807C40FF 00014A00
	buffer_load_dwordx4 v201, s[12:15], 0 offen lds            // 000000004D18: E05D1000 800300C9
	v_mfma_scale_f32_16x16x128_f8f6f4 a[72:75], v[172:175], v[72:75], a[72:75], v194, v188 op_sel_hi:[0,0,0] cbsz:4 blgp:4// 000000004D20: D3AC6800 000379C2 D3AD8C48 852291AC
	s_add_u32 s62, 0x400, s60                                  // 000000004D30: 803E3CFF 00000400
	ds_read_b128 v[112:115], v205 offset:25408                 // 000000004D38: D9FE6340 700000CD
	v_mfma_scale_f32_16x16x128_f8f6f4 a[76:79], v[172:175], v[76:79], a[76:79], v194, v188 op_sel_hi:[0,0,0] cbsz:4 blgp:4// 000000004D40: D3AC7800 000379C2 D3AD8C4C 853299AC
	s_cmp_lt_u32 s62, s61                                      // 000000004D50: BF0A3D3E
	s_cselect_b32 s66, s66, 0                                  // 000000004D54: 85428042
	v_mfma_scale_f32_16x16x128_f8f6f4 a[64:67], v[176:179], v[80:83], a[64:67], v194, v188 op_sel_hi:[0,0,0] cbsz:4 blgp:4// 000000004D58: D3AC6000 180379C2 D3AD8C40 8502A1B0
	s_cselect_b32 s68, s68, 0                                  // 000000004D68: 85448044
	ds_read_b128 v[108:111], v205 offset:25856                 // 000000004D6C: D9FE6500 6C0000CD
	v_mfma_scale_f32_16x16x128_f8f6f4 a[68:71], v[176:179], v[84:87], a[68:71], v194, v188 op_sel_hi:[0,0,0] cbsz:4 blgp:4// 000000004D74: D3AC7000 180379C2 D3AD8C44 8512A9B0
	s_add_u32 s12, s12, s66                                    // 000000004D84: 800C420C
	buffer_load_dwordx4 v[152:155], v209, s[16:19], 0 offen    // 000000004D88: E05C1000 800498D1
	v_mfma_scale_f32_16x16x128_f8f6f4 a[72:75], v[180:183], v[80:83], a[72:75], v194, v188 op_sel_hi:[0,0,0] cbsz:4 blgp:4// 000000004D90: D3AC6800 180379C2 D3AD8C48 8522A1B4
	s_addc_u32 s13, 0, s13                                     // 000000004DA0: 820D0D80
	ds_read_b128 v[116:119], v205 offset:25920                 // 000000004DA4: D9FE6540 740000CD
	v_mfma_scale_f32_16x16x128_f8f6f4 a[76:79], v[180:183], v[84:87], a[76:79], v194, v188 op_sel_hi:[0,0,0] cbsz:4 blgp:4// 000000004DAC: D3AC7800 180379C2 D3AD8C4C 8532A9B4
	s_sub_u32 s14, s14, s66                                    // 000000004DBC: 808E420E
	s_add_u32 s20, s20, s68                                    // 000000004DC0: 80144414
	ds_read_b32 v190, v208 offset:7680                         // 000000004DC4: D86C1E00 BE0000D0
	s_waitcnt vmcnt(34) lgkmcnt(5)                             // 000000004DCC: BF8C8572
	s_barrier                                                  // 000000004DD0: BF8A0000
	v_mfma_scale_f32_16x16x128_f8f6f4 a[80:83], v[168:171], v[88:91], a[80:83], v194, v189 op_sel_hi:[0,0,0] cbsz:4 blgp:4// 000000004DD4: D3AC6000 00037BC2 D3AD8C50 8542B1A8
	s_addc_u32 s21, 0, s21                                     // 000000004DE4: 82151580
	ds_read_b128 v[8:11], v202                                 // 000000004DE8: D9FE0000 080000CA
	v_mfma_scale_f32_16x16x128_f8f6f4 a[84:87], v[168:171], v[92:95], a[84:87], v194, v189 op_sel_hi:[0,0,0] cbsz:4 blgp:4// 000000004DF0: D3AC7000 00037BC2 D3AD8C54 8552B9A8
	s_sub_u32 s22, s22, s68                                    // 000000004E00: 80964416
	buffer_load_dwordx4 v[156:159], v210, s[16:19], 0 offen    // 000000004E04: E05C1000 80049CD2
	v_mfma_scale_f32_16x16x128_f8f6f4 a[88:91], v[172:175], v[88:91], a[88:91], v194, v189 op_sel_hi:[0,0,0] cbsz:4 blgp:4// 000000004E0C: D3AC6800 00037BC2 D3AD8C58 8562B1AC
	s_add_u32 s63, 0x400, s60                                  // 000000004E1C: 803F3CFF 00000400
	ds_read_b128 v[16:19], v202 offset:64                      // 000000004E24: D9FE0040 100000CA
	v_mfma_scale_f32_16x16x128_f8f6f4 a[92:95], v[172:175], v[92:95], a[92:95], v194, v189 op_sel_hi:[0,0,0] cbsz:4 blgp:4// 000000004E2C: D3AC7800 00037BC2 D3AD8C5C 8572B9AC
	s_cmp_lt_u32 s63, s61                                      // 000000004E3C: BF0A3D3F
	s_cselect_b32 s67, s67, 0                                  // 000000004E40: 85438043
	v_mfma_scale_f32_16x16x128_f8f6f4 a[80:83], v[176:179], v[96:99], a[80:83], v194, v189 op_sel_hi:[0,0,0] cbsz:4 blgp:4// 000000004E44: D3AC6000 18037BC2 D3AD8C50 8542C1B0
	s_cselect_b32 s69, s69, 0                                  // 000000004E54: 85458045
	ds_read_b128 v[12:15], v202 offset:512                     // 000000004E58: D9FE0200 0C0000CA
	v_mfma_scale_f32_16x16x128_f8f6f4 a[84:87], v[176:179], v[100:103], a[84:87], v194, v189 op_sel_hi:[0,0,0] cbsz:4 blgp:4// 000000004E60: D3AC7000 18037BC2 D3AD8C54 8552C9B0
	buffer_load_dwordx4 v[160:163], v209, s[16:19], 0 offen offset:1024// 000000004E70: E05C1400 8004A0D1
	v_mfma_scale_f32_16x16x128_f8f6f4 a[88:91], v[180:183], v[96:99], a[88:91], v194, v189 op_sel_hi:[0,0,0] cbsz:4 blgp:4// 000000004E78: D3AC6800 18037BC2 D3AD8C58 8562C1B4
	ds_read_b128 v[20:23], v202 offset:576                     // 000000004E88: D9FE0240 140000CA
	v_mfma_scale_f32_16x16x128_f8f6f4 a[92:95], v[180:183], v[100:103], a[92:95], v194, v189 op_sel_hi:[0,0,0] cbsz:4 blgp:4// 000000004E90: D3AC7800 18037BC2 D3AD8C5C 8572C9B4
	ds_read_b32 v184, v208                                     // 000000004EA0: D86C0000 B80000D0
	s_waitcnt lgkmcnt(5)                                       // 000000004EA8: BF8CC57F
	v_mfma_scale_f32_16x16x128_f8f6f4 a[96:99], v[168:171], v[104:107], a[96:99], v194, v190 op_sel_hi:[0,0,0] cbsz:4 blgp:4// 000000004EAC: D3AC6000 00037DC2 D3AD8C60 8582D1A8
	ds_read_b128 v[24:27], v202 offset:4224                    // 000000004EBC: D9FE1080 180000CA
	v_mfma_scale_f32_16x16x128_f8f6f4 a[100:103], v[168:171], v[108:111], a[100:103], v194, v190 op_sel_hi:[0,0,0] cbsz:4 blgp:4// 000000004EC4: D3AC7000 00037DC2 D3AD8C64 8592D9A8
	buffer_load_dwordx4 v[164:167], v210, s[16:19], 0 offen offset:1024// 000000004ED4: E05C1400 8004A4D2
	v_mfma_scale_f32_16x16x128_f8f6f4 a[104:107], v[172:175], v[104:107], a[104:107], v194, v190 op_sel_hi:[0,0,0] cbsz:4 blgp:4// 000000004EDC: D3AC6800 00037DC2 D3AD8C68 85A2D1AC
	ds_read_b128 v[32:35], v202 offset:4288                    // 000000004EEC: D9FE10C0 200000CA
	v_mfma_scale_f32_16x16x128_f8f6f4 a[108:111], v[172:175], v[108:111], a[108:111], v194, v190 op_sel_hi:[0,0,0] cbsz:4 blgp:4// 000000004EF4: D3AC7800 00037DC2 D3AD8C6C 85B2D9AC
	v_mfma_scale_f32_16x16x128_f8f6f4 a[96:99], v[176:179], v[112:115], a[96:99], v194, v190 op_sel_hi:[0,0,0] cbsz:4 blgp:4// 000000004F04: D3AC6000 18037DC2 D3AD8C60 8582E1B0
	ds_read_b128 v[28:31], v202 offset:4736                    // 000000004F14: D9FE1280 1C0000CA
	v_mfma_scale_f32_16x16x128_f8f6f4 a[100:103], v[176:179], v[116:119], a[100:103], v194, v190 op_sel_hi:[0,0,0] cbsz:4 blgp:4// 000000004F1C: D3AC7000 18037DC2 D3AD8C64 8592E9B0
	buffer_load_dword v193, v211, s[24:27], 0 offen            // 000000004F2C: E0501000 8006C1D3
	v_mfma_scale_f32_16x16x128_f8f6f4 a[104:107], v[180:183], v[112:115], a[104:107], v194, v190 op_sel_hi:[0,0,0] cbsz:4 blgp:4// 000000004F34: D3AC6800 18037DC2 D3AD8C68 85A2E1B4
	s_add_u32 s16, s16, s67                                    // 000000004F44: 80104310
	ds_read_b128 v[36:39], v202 offset:4800                    // 000000004F48: D9FE12C0 240000CA
	v_mfma_scale_f32_16x16x128_f8f6f4 a[108:111], v[180:183], v[116:119], a[108:111], v194, v190 op_sel_hi:[0,0,0] cbsz:4 blgp:4// 000000004F50: D3AC7800 18037DC2 D3AD8C6C 85B2E9B4
	s_addc_u32 s17, 0, s17                                     // 000000004F60: 82111180
	s_sub_u32 s18, s18, s67                                    // 000000004F64: 80924312
	ds_read_b32 v185, v208 offset:256                          // 000000004F68: D86C0100 B90000D0
	s_add_u32 s24, s24, s69                                    // 000000004F70: 80184518
	s_addc_u32 s25, 0, s25                                     // 000000004F74: 82191980
	s_sub_u32 s26, s26, s69                                    // 000000004F78: 809A451A
	s_addk_i32 s60, 0x100                                      // 000000004F7C: B73C0100
	s_cmp_lt_i32 s60, s61                                      // 000000004F80: BF043D3C
	s_cbranch_scc0 label_0EBA                                  // 000000004F84: BF8405D8
	s_branch label_030C                                        // 000000004F88: BF82FA29

0000000000004f8c <label_08E3>:
	s_waitcnt vmcnt(28) lgkmcnt(5)                             // 000000004F8C: BF8C457C
	s_barrier                                                  // 000000004F90: BF8A0000
	v_mfma_scale_f32_16x16x128_f8f6f4 a[0:3], v[120:123], v[8:11], a[0:3], v191, v184 op_sel_hi:[0,0,0] cbsz:4 blgp:4// 000000004F94: D3AC6000 000371BF D3AD8C00 84021178
	s_add_u32 m0, 0x1800, s65                                  // 000000004FA4: 807C41FF 00001800
	buffer_load_dword v206, s[20:23], 0 offen lds              // 000000004FAC: E0511000 800500CE
	v_mfma_scale_f32_16x16x128_f8f6f4 a[4:7], v[120:123], v[12:15], a[4:7], v191, v184 op_sel_hi:[0,0,0] cbsz:4 blgp:4// 000000004FB4: D3AC7000 000371BF D3AD8C04 84121978
	ds_read_b128 v[40:43], v202 offset:8448                    // 000000004FC4: D9FE2100 280000CA
	v_mfma_scale_f32_16x16x128_f8f6f4 a[8:11], v[124:127], v[8:11], a[8:11], v191, v184 op_sel_hi:[0,0,0] cbsz:4 blgp:4// 000000004FCC: D3AC6800 000371BF D3AD8C08 8422117C
	v_mfma_scale_f32_16x16x128_f8f6f4 a[12:15], v[124:127], v[12:15], a[12:15], v191, v184 op_sel_hi:[0,0,0] cbsz:4 blgp:4// 000000004FDC: D3AC7800 000371BF D3AD8C0C 8432197C
	ds_read_b128 v[48:51], v202 offset:8512                    // 000000004FEC: D9FE2140 300000CA
	v_mfma_scale_f32_16x16x128_f8f6f4 a[0:3], v[128:131], v[16:19], a[0:3], v191, v184 op_sel_hi:[0,0,0] cbsz:4 blgp:4// 000000004FF4: D3AC6000 180371BF D3AD8C00 84022180
	s_add_u32 m0, 0x1c00, s65                                  // 000000005004: 807C41FF 00001C00
	buffer_load_dword v207, s[20:23], 0 offen lds              // 00000000500C: E0511000 800500CF
	v_mfma_scale_f32_16x16x128_f8f6f4 a[4:7], v[128:131], v[20:23], a[4:7], v191, v184 op_sel_hi:[0,0,0] cbsz:4 blgp:4// 000000005014: D3AC7000 180371BF D3AD8C04 84122980
	ds_read_b128 v[44:47], v202 offset:8960                    // 000000005024: D9FE2300 2C0000CA
	v_mfma_scale_f32_16x16x128_f8f6f4 a[8:11], v[132:135], v[16:19], a[8:11], v191, v184 op_sel_hi:[0,0,0] cbsz:4 blgp:4// 00000000502C: D3AC6800 180371BF D3AD8C08 84222184
	v_mfma_scale_f32_16x16x128_f8f6f4 a[12:15], v[132:135], v[20:23], a[12:15], v191, v184 op_sel_hi:[0,0,0] cbsz:4 blgp:4// 00000000503C: D3AC7800 180371BF D3AD8C0C 84322984
	ds_read_b128 v[52:55], v202 offset:9024                    // 00000000504C: D9FE2340 340000CA
	ds_read_b32 v186, v208 offset:512                          // 000000005054: D86C0200 BA0000D0
	s_waitcnt lgkmcnt(5)                                       // 00000000505C: BF8CC57F
	v_mfma_scale_f32_16x16x128_f8f6f4 a[16:19], v[120:123], v[24:27], a[16:19], v191, v185 op_sel_hi:[0,0,0] cbsz:4 blgp:4// 000000005060: D3AC6000 000373BF D3AD8C10 84423178
	s_add_u32 m0, 0x15a80, s64                                 // 000000005070: 807C40FF 00015A80
	buffer_load_dwordx4 v195, s[12:15], 0 offen lds            // 000000005078: E05D1000 800300C3
	v_mfma_scale_f32_16x16x128_f8f6f4 a[20:23], v[120:123], v[28:31], a[20:23], v191, v185 op_sel_hi:[0,0,0] cbsz:4 blgp:4// 000000005080: D3AC7000 000373BF D3AD8C14 84523978
	ds_read_b128 v[56:59], v202 offset:12672                   // 000000005090: D9FE3180 380000CA
	v_mfma_scale_f32_16x16x128_f8f6f4 a[24:27], v[124:127], v[24:27], a[24:27], v191, v185 op_sel_hi:[0,0,0] cbsz:4 blgp:4// 000000005098: D3AC6800 000373BF D3AD8C18 8462317C
	v_mfma_scale_f32_16x16x128_f8f6f4 a[28:31], v[124:127], v[28:31], a[28:31], v191, v185 op_sel_hi:[0,0,0] cbsz:4 blgp:4// 0000000050A8: D3AC7800 000373BF D3AD8C1C 8472397C
	ds_read_b128 v[64:67], v202 offset:12736                   // 0000000050B8: D9FE31C0 400000CA
	v_mfma_scale_f32_16x16x128_f8f6f4 a[16:19], v[128:131], v[32:35], a[16:19], v191, v185 op_sel_hi:[0,0,0] cbsz:4 blgp:4// 0000000050C0: D3AC6000 180373BF D3AD8C10 84424180
	s_add_u32 m0, 0x16b00, s64                                 // 0000000050D0: 807C40FF 00016B00
	buffer_load_dwordx4 v196, s[12:15], 0 offen lds            // 0000000050D8: E05D1000 800300C4
	v_mfma_scale_f32_16x16x128_f8f6f4 a[20:23], v[128:131], v[36:39], a[20:23], v191, v185 op_sel_hi:[0,0,0] cbsz:4 blgp:4// 0000000050E0: D3AC7000 180373BF D3AD8C14 84524980
	ds_read_b128 v[60:63], v202 offset:13184                   // 0000000050F0: D9FE3380 3C0000CA
	v_mfma_scale_f32_16x16x128_f8f6f4 a[24:27], v[132:135], v[32:35], a[24:27], v191, v185 op_sel_hi:[0,0,0] cbsz:4 blgp:4// 0000000050F8: D3AC6800 180373BF D3AD8C18 84624184
	v_mfma_scale_f32_16x16x128_f8f6f4 a[28:31], v[132:135], v[36:39], a[28:31], v191, v185 op_sel_hi:[0,0,0] cbsz:4 blgp:4// 000000005108: D3AC7800 180373BF D3AD8C1C 84724984
	ds_read_b128 v[68:71], v202 offset:13248                   // 000000005118: D9FE33C0 440000CA
	ds_read_b32 v187, v208 offset:768                          // 000000005120: D86C0300 BB0000D0
	s_waitcnt lgkmcnt(5)                                       // 000000005128: BF8CC57F
	v_mfma_scale_f32_16x16x128_f8f6f4 a[32:35], v[120:123], v[40:43], a[32:35], v191, v186 op_sel_hi:[0,0,0] cbsz:4 blgp:4// 00000000512C: D3AC6000 000375BF D3AD8C20 84825178
	s_add_u32 m0, 0x17b80, s64                                 // 00000000513C: 807C40FF 00017B80
	buffer_load_dwordx4 v197, s[12:15], 0 offen lds            // 000000005144: E05D1000 800300C5
	v_mfma_scale_f32_16x16x128_f8f6f4 a[36:39], v[120:123], v[44:47], a[36:39], v191, v186 op_sel_hi:[0,0,0] cbsz:4 blgp:4// 00000000514C: D3AC7000 000375BF D3AD8C24 84925978
	ds_read_b128 v[72:75], v202 offset:16896                   // 00000000515C: D9FE4200 480000CA
	v_mfma_scale_f32_16x16x128_f8f6f4 a[40:43], v[124:127], v[40:43], a[40:43], v191, v186 op_sel_hi:[0,0,0] cbsz:4 blgp:4// 000000005164: D3AC6800 000375BF D3AD8C28 84A2517C
	v_mfma_scale_f32_16x16x128_f8f6f4 a[44:47], v[124:127], v[44:47], a[44:47], v191, v186 op_sel_hi:[0,0,0] cbsz:4 blgp:4// 000000005174: D3AC7800 000375BF D3AD8C2C 84B2597C
	ds_read_b128 v[80:83], v202 offset:16960                   // 000000005184: D9FE4240 500000CA
	v_mfma_scale_f32_16x16x128_f8f6f4 a[32:35], v[128:131], v[48:51], a[32:35], v191, v186 op_sel_hi:[0,0,0] cbsz:4 blgp:4// 00000000518C: D3AC6000 180375BF D3AD8C20 84826180
	s_add_u32 m0, 0x18c00, s64                                 // 00000000519C: 807C40FF 00018C00
	buffer_load_dwordx4 v198, s[12:15], 0 offen lds            // 0000000051A4: E05D1000 800300C6
	v_mfma_scale_f32_16x16x128_f8f6f4 a[36:39], v[128:131], v[52:55], a[36:39], v191, v186 op_sel_hi:[0,0,0] cbsz:4 blgp:4// 0000000051AC: D3AC7000 180375BF D3AD8C24 84926980
	ds_read_b128 v[76:79], v202 offset:17408                   // 0000000051BC: D9FE4400 4C0000CA
	v_mfma_scale_f32_16x16x128_f8f6f4 a[40:43], v[132:135], v[48:51], a[40:43], v191, v186 op_sel_hi:[0,0,0] cbsz:4 blgp:4// 0000000051C4: D3AC6800 180375BF D3AD8C28 84A26184
	v_mfma_scale_f32_16x16x128_f8f6f4 a[44:47], v[132:135], v[52:55], a[44:47], v191, v186 op_sel_hi:[0,0,0] cbsz:4 blgp:4// 0000000051D4: D3AC7800 180375BF D3AD8C2C 84B26984
	ds_read_b128 v[84:87], v202 offset:17472                   // 0000000051E4: D9FE4440 540000CA
	ds_read_b32 v188, v208 offset:1024                         // 0000000051EC: D86C0400 BC0000D0
	s_waitcnt lgkmcnt(5)                                       // 0000000051F4: BF8CC57F
	v_mfma_scale_f32_16x16x128_f8f6f4 a[48:51], v[120:123], v[56:59], a[48:51], v191, v187 op_sel_hi:[0,0,0] cbsz:4 blgp:4// 0000000051F8: D3AC6000 000377BF D3AD8C30 84C27178
	s_add_u32 m0, 0x19c80, s64                                 // 000000005208: 807C40FF 00019C80
	buffer_load_dwordx4 v199, s[12:15], 0 offen lds            // 000000005210: E05D1000 800300C7
	v_mfma_scale_f32_16x16x128_f8f6f4 a[52:55], v[120:123], v[60:63], a[52:55], v191, v187 op_sel_hi:[0,0,0] cbsz:4 blgp:4// 000000005218: D3AC7000 000377BF D3AD8C34 84D27978
	ds_read_b128 v[88:91], v202 offset:21120                   // 000000005228: D9FE5280 580000CA
	v_mfma_scale_f32_16x16x128_f8f6f4 a[56:59], v[124:127], v[56:59], a[56:59], v191, v187 op_sel_hi:[0,0,0] cbsz:4 blgp:4// 000000005230: D3AC6800 000377BF D3AD8C38 84E2717C
	v_mfma_scale_f32_16x16x128_f8f6f4 a[60:63], v[124:127], v[60:63], a[60:63], v191, v187 op_sel_hi:[0,0,0] cbsz:4 blgp:4// 000000005240: D3AC7800 000377BF D3AD8C3C 84F2797C
	ds_read_b128 v[96:99], v202 offset:21184                   // 000000005250: D9FE52C0 600000CA
	v_mfma_scale_f32_16x16x128_f8f6f4 a[48:51], v[128:131], v[64:67], a[48:51], v191, v187 op_sel_hi:[0,0,0] cbsz:4 blgp:4// 000000005258: D3AC6000 180377BF D3AD8C30 84C28180
	s_add_u32 m0, 0x1ad00, s64                                 // 000000005268: 807C40FF 0001AD00
	buffer_load_dwordx4 v200, s[12:15], 0 offen lds            // 000000005270: E05D1000 800300C8
	v_mfma_scale_f32_16x16x128_f8f6f4 a[52:55], v[128:131], v[68:71], a[52:55], v191, v187 op_sel_hi:[0,0,0] cbsz:4 blgp:4// 000000005278: D3AC7000 180377BF D3AD8C34 84D28980
	ds_read_b128 v[92:95], v202 offset:21632                   // 000000005288: D9FE5480 5C0000CA
	v_mfma_scale_f32_16x16x128_f8f6f4 a[56:59], v[132:135], v[64:67], a[56:59], v191, v187 op_sel_hi:[0,0,0] cbsz:4 blgp:4// 000000005290: D3AC6800 180377BF D3AD8C38 84E28184
	v_mfma_scale_f32_16x16x128_f8f6f4 a[60:63], v[132:135], v[68:71], a[60:63], v191, v187 op_sel_hi:[0,0,0] cbsz:4 blgp:4// 0000000052A0: D3AC7800 180377BF D3AD8C3C 84F28984
	ds_read_b128 v[100:103], v202 offset:21696                 // 0000000052B0: D9FE54C0 640000CA
	ds_read_b32 v189, v208 offset:1280                         // 0000000052B8: D86C0500 BD0000D0
	s_waitcnt lgkmcnt(5)                                       // 0000000052C0: BF8CC57F
	v_mfma_scale_f32_16x16x128_f8f6f4 a[64:67], v[120:123], v[72:75], a[64:67], v191, v188 op_sel_hi:[0,0,0] cbsz:4 blgp:4// 0000000052C4: D3AC6000 000379BF D3AD8C40 85029178
	s_add_u32 m0, 0x1bd80, s64                                 // 0000000052D4: 807C40FF 0001BD80
	buffer_load_dwordx4 v201, s[12:15], 0 offen lds            // 0000000052DC: E05D1000 800300C9
	v_mfma_scale_f32_16x16x128_f8f6f4 a[68:71], v[120:123], v[76:79], a[68:71], v191, v188 op_sel_hi:[0,0,0] cbsz:4 blgp:4// 0000000052E4: D3AC7000 000379BF D3AD8C44 85129978
	s_add_u32 s62, 0x400, s60                                  // 0000000052F4: 803E3CFF 00000400
	ds_read_b128 v[104:107], v202 offset:25344                 // 0000000052FC: D9FE6300 680000CA
	v_mfma_scale_f32_16x16x128_f8f6f4 a[72:75], v[124:127], v[72:75], a[72:75], v191, v188 op_sel_hi:[0,0,0] cbsz:4 blgp:4// 000000005304: D3AC6800 000379BF D3AD8C48 8522917C
	s_cmp_lt_u32 s62, s61                                      // 000000005314: BF0A3D3E
	s_cselect_b32 s66, s66, 0                                  // 000000005318: 85428042
	v_mfma_scale_f32_16x16x128_f8f6f4 a[76:79], v[124:127], v[76:79], a[76:79], v191, v188 op_sel_hi:[0,0,0] cbsz:4 blgp:4// 00000000531C: D3AC7800 000379BF D3AD8C4C 8532997C
	s_cselect_b32 s68, s68, 0                                  // 00000000532C: 85448044
	ds_read_b128 v[112:115], v202 offset:25408                 // 000000005330: D9FE6340 700000CA
	v_mfma_scale_f32_16x16x128_f8f6f4 a[64:67], v[128:131], v[80:83], a[64:67], v191, v188 op_sel_hi:[0,0,0] cbsz:4 blgp:4// 000000005338: D3AC6000 180379BF D3AD8C40 8502A180
	s_add_u32 s12, s12, s66                                    // 000000005348: 800C420C
	buffer_load_dwordx4 v[168:171], v209, s[16:19], 0 offen    // 00000000534C: E05C1000 8004A8D1
	v_mfma_scale_f32_16x16x128_f8f6f4 a[68:71], v[128:131], v[84:87], a[68:71], v191, v188 op_sel_hi:[0,0,0] cbsz:4 blgp:4// 000000005354: D3AC7000 180379BF D3AD8C44 8512A980
	s_addc_u32 s13, 0, s13                                     // 000000005364: 820D0D80
	ds_read_b128 v[108:111], v202 offset:25856                 // 000000005368: D9FE6500 6C0000CA
	v_mfma_scale_f32_16x16x128_f8f6f4 a[72:75], v[132:135], v[80:83], a[72:75], v191, v188 op_sel_hi:[0,0,0] cbsz:4 blgp:4// 000000005370: D3AC6800 180379BF D3AD8C48 8522A184
	s_sub_u32 s14, s14, s66                                    // 000000005380: 808E420E
	s_add_u32 s20, s20, s68                                    // 000000005384: 80144414
	v_mfma_scale_f32_16x16x128_f8f6f4 a[76:79], v[132:135], v[84:87], a[76:79], v191, v188 op_sel_hi:[0,0,0] cbsz:4 blgp:4// 000000005388: D3AC7800 180379BF D3AD8C4C 8532A984
	s_addc_u32 s21, 0, s21                                     // 000000005398: 82151580
	ds_read_b128 v[116:119], v202 offset:25920                 // 00000000539C: D9FE6540 740000CA
	ds_read_b32 v190, v208 offset:1536                         // 0000000053A4: D86C0600 BE0000D0
	s_waitcnt vmcnt(34) lgkmcnt(5)                             // 0000000053AC: BF8C8572
	s_barrier                                                  // 0000000053B0: BF8A0000
	v_mfma_scale_f32_16x16x128_f8f6f4 a[80:83], v[120:123], v[88:91], a[80:83], v191, v189 op_sel_hi:[0,0,0] cbsz:4 blgp:4// 0000000053B4: D3AC6000 00037BBF D3AD8C50 8542B178
	s_sub_u32 s22, s22, s68                                    // 0000000053C4: 80964416
	buffer_load_dwordx4 v[172:175], v210, s[16:19], 0 offen    // 0000000053C8: E05C1000 8004ACD2
	v_mfma_scale_f32_16x16x128_f8f6f4 a[84:87], v[120:123], v[92:95], a[84:87], v191, v189 op_sel_hi:[0,0,0] cbsz:4 blgp:4// 0000000053D0: D3AC7000 00037BBF D3AD8C54 8552B978
	s_add_u32 s63, 0x400, s60                                  // 0000000053E0: 803F3CFF 00000400
	ds_read_b128 v[8:11], v203                                 // 0000000053E8: D9FE0000 080000CB
	v_mfma_scale_f32_16x16x128_f8f6f4 a[88:91], v[124:127], v[88:91], a[88:91], v191, v189 op_sel_hi:[0,0,0] cbsz:4 blgp:4// 0000000053F0: D3AC6800 00037BBF D3AD8C58 8562B17C
	s_cmp_lt_u32 s63, s61                                      // 000000005400: BF0A3D3F
	s_cselect_b32 s67, s67, 0                                  // 000000005404: 85438043
	v_mfma_scale_f32_16x16x128_f8f6f4 a[92:95], v[124:127], v[92:95], a[92:95], v191, v189 op_sel_hi:[0,0,0] cbsz:4 blgp:4// 000000005408: D3AC7800 00037BBF D3AD8C5C 8572B97C
	s_cselect_b32 s69, s69, 0                                  // 000000005418: 85458045
	ds_read_b128 v[16:19], v203 offset:64                      // 00000000541C: D9FE0040 100000CB
	v_mfma_scale_f32_16x16x128_f8f6f4 a[80:83], v[128:131], v[96:99], a[80:83], v191, v189 op_sel_hi:[0,0,0] cbsz:4 blgp:4// 000000005424: D3AC6000 18037BBF D3AD8C50 8542C180
	buffer_load_dwordx4 v[176:179], v209, s[16:19], 0 offen offset:1024// 000000005434: E05C1400 8004B0D1
	v_mfma_scale_f32_16x16x128_f8f6f4 a[84:87], v[128:131], v[100:103], a[84:87], v191, v189 op_sel_hi:[0,0,0] cbsz:4 blgp:4// 00000000543C: D3AC7000 18037BBF D3AD8C54 8552C980
	ds_read_b128 v[12:15], v203 offset:512                     // 00000000544C: D9FE0200 0C0000CB
	v_mfma_scale_f32_16x16x128_f8f6f4 a[88:91], v[132:135], v[96:99], a[88:91], v191, v189 op_sel_hi:[0,0,0] cbsz:4 blgp:4// 000000005454: D3AC6800 18037BBF D3AD8C58 8562C184
	v_mfma_scale_f32_16x16x128_f8f6f4 a[92:95], v[132:135], v[100:103], a[92:95], v191, v189 op_sel_hi:[0,0,0] cbsz:4 blgp:4// 000000005464: D3AC7800 18037BBF D3AD8C5C 8572C984
	ds_read_b128 v[20:23], v203 offset:576                     // 000000005474: D9FE0240 140000CB
	ds_read_b32 v184, v208 offset:2048                         // 00000000547C: D86C0800 B80000D0
	s_waitcnt lgkmcnt(5)                                       // 000000005484: BF8CC57F
	v_mfma_scale_f32_16x16x128_f8f6f4 a[96:99], v[120:123], v[104:107], a[96:99], v191, v190 op_sel_hi:[0,0,0] cbsz:4 blgp:4// 000000005488: D3AC6000 00037DBF D3AD8C60 8582D178
	buffer_load_dwordx4 v[180:183], v210, s[16:19], 0 offen offset:1024// 000000005498: E05C1400 8004B4D2
	v_mfma_scale_f32_16x16x128_f8f6f4 a[100:103], v[120:123], v[108:111], a[100:103], v191, v190 op_sel_hi:[0,0,0] cbsz:4 blgp:4// 0000000054A0: D3AC7000 00037DBF D3AD8C64 8592D978
	ds_read_b128 v[24:27], v203 offset:4224                    // 0000000054B0: D9FE1080 180000CB
	v_mfma_scale_f32_16x16x128_f8f6f4 a[104:107], v[124:127], v[104:107], a[104:107], v191, v190 op_sel_hi:[0,0,0] cbsz:4 blgp:4// 0000000054B8: D3AC6800 00037DBF D3AD8C68 85A2D17C
	v_mfma_scale_f32_16x16x128_f8f6f4 a[108:111], v[124:127], v[108:111], a[108:111], v191, v190 op_sel_hi:[0,0,0] cbsz:4 blgp:4// 0000000054C8: D3AC7800 00037DBF D3AD8C6C 85B2D97C
	ds_read_b128 v[32:35], v203 offset:4288                    // 0000000054D8: D9FE10C0 200000CB
	v_mfma_scale_f32_16x16x128_f8f6f4 a[96:99], v[128:131], v[112:115], a[96:99], v191, v190 op_sel_hi:[0,0,0] cbsz:4 blgp:4// 0000000054E0: D3AC6000 18037DBF D3AD8C60 8582E180
	buffer_load_dword v194, v211, s[24:27], 0 offen            // 0000000054F0: E0501000 8006C2D3
	v_mfma_scale_f32_16x16x128_f8f6f4 a[100:103], v[128:131], v[116:119], a[100:103], v191, v190 op_sel_hi:[0,0,0] cbsz:4 blgp:4// 0000000054F8: D3AC7000 18037DBF D3AD8C64 8592E980
	s_add_u32 s16, s16, s67                                    // 000000005508: 80104310
	ds_read_b128 v[28:31], v203 offset:4736                    // 00000000550C: D9FE1280 1C0000CB
	v_mfma_scale_f32_16x16x128_f8f6f4 a[104:107], v[132:135], v[112:115], a[104:107], v191, v190 op_sel_hi:[0,0,0] cbsz:4 blgp:4// 000000005514: D3AC6800 18037DBF D3AD8C68 85A2E184
	s_addc_u32 s17, 0, s17                                     // 000000005524: 82111180
	s_sub_u32 s18, s18, s67                                    // 000000005528: 80924312
	v_mfma_scale_f32_16x16x128_f8f6f4 a[108:111], v[132:135], v[116:119], a[108:111], v191, v190 op_sel_hi:[0,0,0] cbsz:4 blgp:4// 00000000552C: D3AC7800 18037DBF D3AD8C6C 85B2E984
	s_add_u32 s24, s24, s69                                    // 00000000553C: 80184518
	ds_read_b128 v[36:39], v203 offset:4800                    // 000000005540: D9FE12C0 240000CB
	ds_read_b32 v185, v208 offset:2304                         // 000000005548: D86C0900 B90000D0
	s_addc_u32 s25, 0, s25                                     // 000000005550: 82191980
	s_sub_u32 s26, s26, s69                                    // 000000005554: 809A451A
	s_addk_i32 s60, 0x100                                      // 000000005558: B73C0100
	s_cmp_lt_i32 s60, s61                                      // 00000000555C: BF043D3C
	s_cbranch_scc0 label_0EBA                                  // 000000005560: BF840461
	s_waitcnt vmcnt(28) lgkmcnt(5)                             // 000000005564: BF8C457C
	s_barrier                                                  // 000000005568: BF8A0000
	v_mfma_scale_f32_16x16x128_f8f6f4 a[0:3], v[136:139], v[8:11], a[0:3], v192, v184 op_sel_hi:[0,0,0] cbsz:4 blgp:4// 00000000556C: D3AC6000 000371C0 D3AD8C00 84021188
	s_add_u32 m0, 0, s65                                       // 00000000557C: 807C4180
	buffer_load_dword v206, s[20:23], 0 offen lds              // 000000005580: E0511000 800500CE
	v_mfma_scale_f32_16x16x128_f8f6f4 a[4:7], v[136:139], v[12:15], a[4:7], v192, v184 op_sel_hi:[0,0,0] cbsz:4 blgp:4// 000000005588: D3AC7000 000371C0 D3AD8C04 84121988
	ds_read_b128 v[40:43], v203 offset:8448                    // 000000005598: D9FE2100 280000CB
	v_mfma_scale_f32_16x16x128_f8f6f4 a[8:11], v[140:143], v[8:11], a[8:11], v192, v184 op_sel_hi:[0,0,0] cbsz:4 blgp:4// 0000000055A0: D3AC6800 000371C0 D3AD8C08 8422118C
	v_mfma_scale_f32_16x16x128_f8f6f4 a[12:15], v[140:143], v[12:15], a[12:15], v192, v184 op_sel_hi:[0,0,0] cbsz:4 blgp:4// 0000000055B0: D3AC7800 000371C0 D3AD8C0C 8432198C
	ds_read_b128 v[48:51], v203 offset:8512                    // 0000000055C0: D9FE2140 300000CB
	v_mfma_scale_f32_16x16x128_f8f6f4 a[0:3], v[144:147], v[16:19], a[0:3], v192, v184 op_sel_hi:[0,0,0] cbsz:4 blgp:4// 0000000055C8: D3AC6000 180371C0 D3AD8C00 84022190
	s_add_u32 m0, 0x400, s65                                   // 0000000055D8: 807C41FF 00000400
	buffer_load_dword v207, s[20:23], 0 offen lds              // 0000000055E0: E0511000 800500CF
	v_mfma_scale_f32_16x16x128_f8f6f4 a[4:7], v[144:147], v[20:23], a[4:7], v192, v184 op_sel_hi:[0,0,0] cbsz:4 blgp:4// 0000000055E8: D3AC7000 180371C0 D3AD8C04 84122990
	ds_read_b128 v[44:47], v203 offset:8960                    // 0000000055F8: D9FE2300 2C0000CB
	v_mfma_scale_f32_16x16x128_f8f6f4 a[8:11], v[148:151], v[16:19], a[8:11], v192, v184 op_sel_hi:[0,0,0] cbsz:4 blgp:4// 000000005600: D3AC6800 180371C0 D3AD8C08 84222194
	v_mfma_scale_f32_16x16x128_f8f6f4 a[12:15], v[148:151], v[20:23], a[12:15], v192, v184 op_sel_hi:[0,0,0] cbsz:4 blgp:4// 000000005610: D3AC7800 180371C0 D3AD8C0C 84322994
	ds_read_b128 v[52:55], v203 offset:9024                    // 000000005620: D9FE2340 340000CB
	ds_read_b32 v186, v208 offset:2560                         // 000000005628: D86C0A00 BA0000D0
	s_waitcnt lgkmcnt(5)                                       // 000000005630: BF8CC57F
	v_mfma_scale_f32_16x16x128_f8f6f4 a[16:19], v[136:139], v[24:27], a[16:19], v192, v185 op_sel_hi:[0,0,0] cbsz:4 blgp:4// 000000005634: D3AC6000 000373C0 D3AD8C10 84423188
	s_add_u32 m0, 0, s64                                       // 000000005644: 807C4080
	buffer_load_dwordx4 v195, s[12:15], 0 offen lds            // 000000005648: E05D1000 800300C3
	v_mfma_scale_f32_16x16x128_f8f6f4 a[20:23], v[136:139], v[28:31], a[20:23], v192, v185 op_sel_hi:[0,0,0] cbsz:4 blgp:4// 000000005650: D3AC7000 000373C0 D3AD8C14 84523988
	ds_read_b128 v[56:59], v203 offset:12672                   // 000000005660: D9FE3180 380000CB
	v_mfma_scale_f32_16x16x128_f8f6f4 a[24:27], v[140:143], v[24:27], a[24:27], v192, v185 op_sel_hi:[0,0,0] cbsz:4 blgp:4// 000000005668: D3AC6800 000373C0 D3AD8C18 8462318C
	v_mfma_scale_f32_16x16x128_f8f6f4 a[28:31], v[140:143], v[28:31], a[28:31], v192, v185 op_sel_hi:[0,0,0] cbsz:4 blgp:4// 000000005678: D3AC7800 000373C0 D3AD8C1C 8472398C
	ds_read_b128 v[64:67], v203 offset:12736                   // 000000005688: D9FE31C0 400000CB
	v_mfma_scale_f32_16x16x128_f8f6f4 a[16:19], v[144:147], v[32:35], a[16:19], v192, v185 op_sel_hi:[0,0,0] cbsz:4 blgp:4// 000000005690: D3AC6000 180373C0 D3AD8C10 84424190
	s_add_u32 m0, 0x1080, s64                                  // 0000000056A0: 807C40FF 00001080
	buffer_load_dwordx4 v196, s[12:15], 0 offen lds            // 0000000056A8: E05D1000 800300C4
	v_mfma_scale_f32_16x16x128_f8f6f4 a[20:23], v[144:147], v[36:39], a[20:23], v192, v185 op_sel_hi:[0,0,0] cbsz:4 blgp:4// 0000000056B0: D3AC7000 180373C0 D3AD8C14 84524990
	ds_read_b128 v[60:63], v203 offset:13184                   // 0000000056C0: D9FE3380 3C0000CB
	v_mfma_scale_f32_16x16x128_f8f6f4 a[24:27], v[148:151], v[32:35], a[24:27], v192, v185 op_sel_hi:[0,0,0] cbsz:4 blgp:4// 0000000056C8: D3AC6800 180373C0 D3AD8C18 84624194
	v_mfma_scale_f32_16x16x128_f8f6f4 a[28:31], v[148:151], v[36:39], a[28:31], v192, v185 op_sel_hi:[0,0,0] cbsz:4 blgp:4// 0000000056D8: D3AC7800 180373C0 D3AD8C1C 84724994
	ds_read_b128 v[68:71], v203 offset:13248                   // 0000000056E8: D9FE33C0 440000CB
	ds_read_b32 v187, v208 offset:2816                         // 0000000056F0: D86C0B00 BB0000D0
	s_waitcnt lgkmcnt(5)                                       // 0000000056F8: BF8CC57F
	v_mfma_scale_f32_16x16x128_f8f6f4 a[32:35], v[136:139], v[40:43], a[32:35], v192, v186 op_sel_hi:[0,0,0] cbsz:4 blgp:4// 0000000056FC: D3AC6000 000375C0 D3AD8C20 84825188
	s_add_u32 m0, 0x2100, s64                                  // 00000000570C: 807C40FF 00002100
	buffer_load_dwordx4 v197, s[12:15], 0 offen lds            // 000000005714: E05D1000 800300C5
	v_mfma_scale_f32_16x16x128_f8f6f4 a[36:39], v[136:139], v[44:47], a[36:39], v192, v186 op_sel_hi:[0,0,0] cbsz:4 blgp:4// 00000000571C: D3AC7000 000375C0 D3AD8C24 84925988
	ds_read_b128 v[72:75], v203 offset:16896                   // 00000000572C: D9FE4200 480000CB
	v_mfma_scale_f32_16x16x128_f8f6f4 a[40:43], v[140:143], v[40:43], a[40:43], v192, v186 op_sel_hi:[0,0,0] cbsz:4 blgp:4// 000000005734: D3AC6800 000375C0 D3AD8C28 84A2518C
	v_mfma_scale_f32_16x16x128_f8f6f4 a[44:47], v[140:143], v[44:47], a[44:47], v192, v186 op_sel_hi:[0,0,0] cbsz:4 blgp:4// 000000005744: D3AC7800 000375C0 D3AD8C2C 84B2598C
	ds_read_b128 v[80:83], v203 offset:16960                   // 000000005754: D9FE4240 500000CB
	v_mfma_scale_f32_16x16x128_f8f6f4 a[32:35], v[144:147], v[48:51], a[32:35], v192, v186 op_sel_hi:[0,0,0] cbsz:4 blgp:4// 00000000575C: D3AC6000 180375C0 D3AD8C20 84826190
	s_add_u32 m0, 0x3180, s64                                  // 00000000576C: 807C40FF 00003180
	buffer_load_dwordx4 v198, s[12:15], 0 offen lds            // 000000005774: E05D1000 800300C6
	v_mfma_scale_f32_16x16x128_f8f6f4 a[36:39], v[144:147], v[52:55], a[36:39], v192, v186 op_sel_hi:[0,0,0] cbsz:4 blgp:4// 00000000577C: D3AC7000 180375C0 D3AD8C24 84926990
	ds_read_b128 v[76:79], v203 offset:17408                   // 00000000578C: D9FE4400 4C0000CB
	v_mfma_scale_f32_16x16x128_f8f6f4 a[40:43], v[148:151], v[48:51], a[40:43], v192, v186 op_sel_hi:[0,0,0] cbsz:4 blgp:4// 000000005794: D3AC6800 180375C0 D3AD8C28 84A26194
	v_mfma_scale_f32_16x16x128_f8f6f4 a[44:47], v[148:151], v[52:55], a[44:47], v192, v186 op_sel_hi:[0,0,0] cbsz:4 blgp:4// 0000000057A4: D3AC7800 180375C0 D3AD8C2C 84B26994
	ds_read_b128 v[84:87], v203 offset:17472                   // 0000000057B4: D9FE4440 540000CB
	ds_read_b32 v188, v208 offset:3072                         // 0000000057BC: D86C0C00 BC0000D0
	s_waitcnt lgkmcnt(5)                                       // 0000000057C4: BF8CC57F
	v_mfma_scale_f32_16x16x128_f8f6f4 a[48:51], v[136:139], v[56:59], a[48:51], v192, v187 op_sel_hi:[0,0,0] cbsz:4 blgp:4// 0000000057C8: D3AC6000 000377C0 D3AD8C30 84C27188
	s_add_u32 m0, 0x4200, s64                                  // 0000000057D8: 807C40FF 00004200
	buffer_load_dwordx4 v199, s[12:15], 0 offen lds            // 0000000057E0: E05D1000 800300C7
	v_mfma_scale_f32_16x16x128_f8f6f4 a[52:55], v[136:139], v[60:63], a[52:55], v192, v187 op_sel_hi:[0,0,0] cbsz:4 blgp:4// 0000000057E8: D3AC7000 000377C0 D3AD8C34 84D27988
	ds_read_b128 v[88:91], v203 offset:21120                   // 0000000057F8: D9FE5280 580000CB
	v_mfma_scale_f32_16x16x128_f8f6f4 a[56:59], v[140:143], v[56:59], a[56:59], v192, v187 op_sel_hi:[0,0,0] cbsz:4 blgp:4// 000000005800: D3AC6800 000377C0 D3AD8C38 84E2718C
	v_mfma_scale_f32_16x16x128_f8f6f4 a[60:63], v[140:143], v[60:63], a[60:63], v192, v187 op_sel_hi:[0,0,0] cbsz:4 blgp:4// 000000005810: D3AC7800 000377C0 D3AD8C3C 84F2798C
	ds_read_b128 v[96:99], v203 offset:21184                   // 000000005820: D9FE52C0 600000CB
	v_mfma_scale_f32_16x16x128_f8f6f4 a[48:51], v[144:147], v[64:67], a[48:51], v192, v187 op_sel_hi:[0,0,0] cbsz:4 blgp:4// 000000005828: D3AC6000 180377C0 D3AD8C30 84C28190
	s_add_u32 m0, 0x5280, s64                                  // 000000005838: 807C40FF 00005280
	buffer_load_dwordx4 v200, s[12:15], 0 offen lds            // 000000005840: E05D1000 800300C8
	v_mfma_scale_f32_16x16x128_f8f6f4 a[52:55], v[144:147], v[68:71], a[52:55], v192, v187 op_sel_hi:[0,0,0] cbsz:4 blgp:4// 000000005848: D3AC7000 180377C0 D3AD8C34 84D28990
	ds_read_b128 v[92:95], v203 offset:21632                   // 000000005858: D9FE5480 5C0000CB
	v_mfma_scale_f32_16x16x128_f8f6f4 a[56:59], v[148:151], v[64:67], a[56:59], v192, v187 op_sel_hi:[0,0,0] cbsz:4 blgp:4// 000000005860: D3AC6800 180377C0 D3AD8C38 84E28194
	v_mfma_scale_f32_16x16x128_f8f6f4 a[60:63], v[148:151], v[68:71], a[60:63], v192, v187 op_sel_hi:[0,0,0] cbsz:4 blgp:4// 000000005870: D3AC7800 180377C0 D3AD8C3C 84F28994
	ds_read_b128 v[100:103], v203 offset:21696                 // 000000005880: D9FE54C0 640000CB
	ds_read_b32 v189, v208 offset:3328                         // 000000005888: D86C0D00 BD0000D0
	s_waitcnt lgkmcnt(5)                                       // 000000005890: BF8CC57F
	v_mfma_scale_f32_16x16x128_f8f6f4 a[64:67], v[136:139], v[72:75], a[64:67], v192, v188 op_sel_hi:[0,0,0] cbsz:4 blgp:4// 000000005894: D3AC6000 000379C0 D3AD8C40 85029188
	s_add_u32 m0, 0x6300, s64                                  // 0000000058A4: 807C40FF 00006300
	buffer_load_dwordx4 v201, s[12:15], 0 offen lds            // 0000000058AC: E05D1000 800300C9
	v_mfma_scale_f32_16x16x128_f8f6f4 a[68:71], v[136:139], v[76:79], a[68:71], v192, v188 op_sel_hi:[0,0,0] cbsz:4 blgp:4// 0000000058B4: D3AC7000 000379C0 D3AD8C44 85129988
	s_add_u32 s62, 0x400, s60                                  // 0000000058C4: 803E3CFF 00000400
	ds_read_b128 v[104:107], v203 offset:25344                 // 0000000058CC: D9FE6300 680000CB
	v_mfma_scale_f32_16x16x128_f8f6f4 a[72:75], v[140:143], v[72:75], a[72:75], v192, v188 op_sel_hi:[0,0,0] cbsz:4 blgp:4// 0000000058D4: D3AC6800 000379C0 D3AD8C48 8522918C
	s_cmp_lt_u32 s62, s61                                      // 0000000058E4: BF0A3D3E
	s_cselect_b32 s66, s66, 0                                  // 0000000058E8: 85428042
	v_mfma_scale_f32_16x16x128_f8f6f4 a[76:79], v[140:143], v[76:79], a[76:79], v192, v188 op_sel_hi:[0,0,0] cbsz:4 blgp:4// 0000000058EC: D3AC7800 000379C0 D3AD8C4C 8532998C
	s_cselect_b32 s68, s68, 0                                  // 0000000058FC: 85448044
	ds_read_b128 v[112:115], v203 offset:25408                 // 000000005900: D9FE6340 700000CB
	v_mfma_scale_f32_16x16x128_f8f6f4 a[64:67], v[144:147], v[80:83], a[64:67], v192, v188 op_sel_hi:[0,0,0] cbsz:4 blgp:4// 000000005908: D3AC6000 180379C0 D3AD8C40 8502A190
	s_add_u32 s12, s12, s66                                    // 000000005918: 800C420C
	buffer_load_dwordx4 v[120:123], v209, s[16:19], 0 offen    // 00000000591C: E05C1000 800478D1
	v_mfma_scale_f32_16x16x128_f8f6f4 a[68:71], v[144:147], v[84:87], a[68:71], v192, v188 op_sel_hi:[0,0,0] cbsz:4 blgp:4// 000000005924: D3AC7000 180379C0 D3AD8C44 8512A990
	s_addc_u32 s13, 0, s13                                     // 000000005934: 820D0D80
	ds_read_b128 v[108:111], v203 offset:25856                 // 000000005938: D9FE6500 6C0000CB
	v_mfma_scale_f32_16x16x128_f8f6f4 a[72:75], v[148:151], v[80:83], a[72:75], v192, v188 op_sel_hi:[0,0,0] cbsz:4 blgp:4// 000000005940: D3AC6800 180379C0 D3AD8C48 8522A194
	s_sub_u32 s14, s14, s66                                    // 000000005950: 808E420E
	s_add_u32 s20, s20, s68                                    // 000000005954: 80144414
	v_mfma_scale_f32_16x16x128_f8f6f4 a[76:79], v[148:151], v[84:87], a[76:79], v192, v188 op_sel_hi:[0,0,0] cbsz:4 blgp:4// 000000005958: D3AC7800 180379C0 D3AD8C4C 8532A994
	s_addc_u32 s21, 0, s21                                     // 000000005968: 82151580
	ds_read_b128 v[116:119], v203 offset:25920                 // 00000000596C: D9FE6540 740000CB
	ds_read_b32 v190, v208 offset:3584                         // 000000005974: D86C0E00 BE0000D0
	s_waitcnt vmcnt(34) lgkmcnt(5)                             // 00000000597C: BF8C8572
	s_barrier                                                  // 000000005980: BF8A0000
	v_mfma_scale_f32_16x16x128_f8f6f4 a[80:83], v[136:139], v[88:91], a[80:83], v192, v189 op_sel_hi:[0,0,0] cbsz:4 blgp:4// 000000005984: D3AC6000 00037BC0 D3AD8C50 8542B188
	s_sub_u32 s22, s22, s68                                    // 000000005994: 80964416
	buffer_load_dwordx4 v[124:127], v210, s[16:19], 0 offen    // 000000005998: E05C1000 80047CD2
	v_mfma_scale_f32_16x16x128_f8f6f4 a[84:87], v[136:139], v[92:95], a[84:87], v192, v189 op_sel_hi:[0,0,0] cbsz:4 blgp:4// 0000000059A0: D3AC7000 00037BC0 D3AD8C54 8552B988
	s_add_u32 s63, 0x400, s60                                  // 0000000059B0: 803F3CFF 00000400
	ds_read_b128 v[8:11], v204                                 // 0000000059B8: D9FE0000 080000CC
	v_mfma_scale_f32_16x16x128_f8f6f4 a[88:91], v[140:143], v[88:91], a[88:91], v192, v189 op_sel_hi:[0,0,0] cbsz:4 blgp:4// 0000000059C0: D3AC6800 00037BC0 D3AD8C58 8562B18C
	s_cmp_lt_u32 s63, s61                                      // 0000000059D0: BF0A3D3F
	s_cselect_b32 s67, s67, 0                                  // 0000000059D4: 85438043
	v_mfma_scale_f32_16x16x128_f8f6f4 a[92:95], v[140:143], v[92:95], a[92:95], v192, v189 op_sel_hi:[0,0,0] cbsz:4 blgp:4// 0000000059D8: D3AC7800 00037BC0 D3AD8C5C 8572B98C
	s_cselect_b32 s69, s69, 0                                  // 0000000059E8: 85458045
	ds_read_b128 v[16:19], v204 offset:64                      // 0000000059EC: D9FE0040 100000CC
	v_mfma_scale_f32_16x16x128_f8f6f4 a[80:83], v[144:147], v[96:99], a[80:83], v192, v189 op_sel_hi:[0,0,0] cbsz:4 blgp:4// 0000000059F4: D3AC6000 18037BC0 D3AD8C50 8542C190
	buffer_load_dwordx4 v[128:131], v209, s[16:19], 0 offen offset:1024// 000000005A04: E05C1400 800480D1
	v_mfma_scale_f32_16x16x128_f8f6f4 a[84:87], v[144:147], v[100:103], a[84:87], v192, v189 op_sel_hi:[0,0,0] cbsz:4 blgp:4// 000000005A0C: D3AC7000 18037BC0 D3AD8C54 8552C990
	ds_read_b128 v[12:15], v204 offset:512                     // 000000005A1C: D9FE0200 0C0000CC
	v_mfma_scale_f32_16x16x128_f8f6f4 a[88:91], v[148:151], v[96:99], a[88:91], v192, v189 op_sel_hi:[0,0,0] cbsz:4 blgp:4// 000000005A24: D3AC6800 18037BC0 D3AD8C58 8562C194
	v_mfma_scale_f32_16x16x128_f8f6f4 a[92:95], v[148:151], v[100:103], a[92:95], v192, v189 op_sel_hi:[0,0,0] cbsz:4 blgp:4// 000000005A34: D3AC7800 18037BC0 D3AD8C5C 8572C994
	ds_read_b128 v[20:23], v204 offset:576                     // 000000005A44: D9FE0240 140000CC
	ds_read_b32 v184, v208 offset:4096                         // 000000005A4C: D86C1000 B80000D0
	s_waitcnt lgkmcnt(5)                                       // 000000005A54: BF8CC57F
	v_mfma_scale_f32_16x16x128_f8f6f4 a[96:99], v[136:139], v[104:107], a[96:99], v192, v190 op_sel_hi:[0,0,0] cbsz:4 blgp:4// 000000005A58: D3AC6000 00037DC0 D3AD8C60 8582D188
	buffer_load_dwordx4 v[132:135], v210, s[16:19], 0 offen offset:1024// 000000005A68: E05C1400 800484D2
	v_mfma_scale_f32_16x16x128_f8f6f4 a[100:103], v[136:139], v[108:111], a[100:103], v192, v190 op_sel_hi:[0,0,0] cbsz:4 blgp:4// 000000005A70: D3AC7000 00037DC0 D3AD8C64 8592D988
	ds_read_b128 v[24:27], v204 offset:4224                    // 000000005A80: D9FE1080 180000CC
	v_mfma_scale_f32_16x16x128_f8f6f4 a[104:107], v[140:143], v[104:107], a[104:107], v192, v190 op_sel_hi:[0,0,0] cbsz:4 blgp:4// 000000005A88: D3AC6800 00037DC0 D3AD8C68 85A2D18C
	v_mfma_scale_f32_16x16x128_f8f6f4 a[108:111], v[140:143], v[108:111], a[108:111], v192, v190 op_sel_hi:[0,0,0] cbsz:4 blgp:4// 000000005A98: D3AC7800 00037DC0 D3AD8C6C 85B2D98C
	ds_read_b128 v[32:35], v204 offset:4288                    // 000000005AA8: D9FE10C0 200000CC
	v_mfma_scale_f32_16x16x128_f8f6f4 a[96:99], v[144:147], v[112:115], a[96:99], v192, v190 op_sel_hi:[0,0,0] cbsz:4 blgp:4// 000000005AB0: D3AC6000 18037DC0 D3AD8C60 8582E190
	buffer_load_dword v191, v211, s[24:27], 0 offen            // 000000005AC0: E0501000 8006BFD3
	v_mfma_scale_f32_16x16x128_f8f6f4 a[100:103], v[144:147], v[116:119], a[100:103], v192, v190 op_sel_hi:[0,0,0] cbsz:4 blgp:4// 000000005AC8: D3AC7000 18037DC0 D3AD8C64 8592E990
	s_add_u32 s16, s16, s67                                    // 000000005AD8: 80104310
	ds_read_b128 v[28:31], v204 offset:4736                    // 000000005ADC: D9FE1280 1C0000CC
	v_mfma_scale_f32_16x16x128_f8f6f4 a[104:107], v[148:151], v[112:115], a[104:107], v192, v190 op_sel_hi:[0,0,0] cbsz:4 blgp:4// 000000005AE4: D3AC6800 18037DC0 D3AD8C68 85A2E194
	s_addc_u32 s17, 0, s17                                     // 000000005AF4: 82111180
	s_sub_u32 s18, s18, s67                                    // 000000005AF8: 80924312
	v_mfma_scale_f32_16x16x128_f8f6f4 a[108:111], v[148:151], v[116:119], a[108:111], v192, v190 op_sel_hi:[0,0,0] cbsz:4 blgp:4// 000000005AFC: D3AC7800 18037DC0 D3AD8C6C 85B2E994
	s_add_u32 s24, s24, s69                                    // 000000005B0C: 80184518
	ds_read_b128 v[36:39], v204 offset:4800                    // 000000005B10: D9FE12C0 240000CC
	ds_read_b32 v185, v208 offset:4352                         // 000000005B18: D86C1100 B90000D0
	s_addc_u32 s25, 0, s25                                     // 000000005B20: 82191980
	s_sub_u32 s26, s26, s69                                    // 000000005B24: 809A451A
	s_addk_i32 s60, 0x100                                      // 000000005B28: B73C0100
	s_cmp_lt_i32 s60, s61                                      // 000000005B2C: BF043D3C
	s_cbranch_scc0 label_0EBA                                  // 000000005B30: BF8402ED
	s_waitcnt vmcnt(28) lgkmcnt(5)                             // 000000005B34: BF8C457C
	s_barrier                                                  // 000000005B38: BF8A0000
	v_mfma_scale_f32_16x16x128_f8f6f4 a[0:3], v[152:155], v[8:11], a[0:3], v193, v184 op_sel_hi:[0,0,0] cbsz:4 blgp:4// 000000005B3C: D3AC6000 000371C1 D3AD8C00 84021198
	s_add_u32 m0, 0x800, s65                                   // 000000005B4C: 807C41FF 00000800
	buffer_load_dword v206, s[20:23], 0 offen lds              // 000000005B54: E0511000 800500CE
	v_mfma_scale_f32_16x16x128_f8f6f4 a[4:7], v[152:155], v[12:15], a[4:7], v193, v184 op_sel_hi:[0,0,0] cbsz:4 blgp:4// 000000005B5C: D3AC7000 000371C1 D3AD8C04 84121998
	ds_read_b128 v[40:43], v204 offset:8448                    // 000000005B6C: D9FE2100 280000CC
	v_mfma_scale_f32_16x16x128_f8f6f4 a[8:11], v[156:159], v[8:11], a[8:11], v193, v184 op_sel_hi:[0,0,0] cbsz:4 blgp:4// 000000005B74: D3AC6800 000371C1 D3AD8C08 8422119C
	v_mfma_scale_f32_16x16x128_f8f6f4 a[12:15], v[156:159], v[12:15], a[12:15], v193, v184 op_sel_hi:[0,0,0] cbsz:4 blgp:4// 000000005B84: D3AC7800 000371C1 D3AD8C0C 8432199C
	ds_read_b128 v[48:51], v204 offset:8512                    // 000000005B94: D9FE2140 300000CC
	v_mfma_scale_f32_16x16x128_f8f6f4 a[0:3], v[160:163], v[16:19], a[0:3], v193, v184 op_sel_hi:[0,0,0] cbsz:4 blgp:4// 000000005B9C: D3AC6000 180371C1 D3AD8C00 840221A0
	s_add_u32 m0, 0xc00, s65                                   // 000000005BAC: 807C41FF 00000C00
	buffer_load_dword v207, s[20:23], 0 offen lds              // 000000005BB4: E0511000 800500CF
	v_mfma_scale_f32_16x16x128_f8f6f4 a[4:7], v[160:163], v[20:23], a[4:7], v193, v184 op_sel_hi:[0,0,0] cbsz:4 blgp:4// 000000005BBC: D3AC7000 180371C1 D3AD8C04 841229A0
	ds_read_b128 v[44:47], v204 offset:8960                    // 000000005BCC: D9FE2300 2C0000CC
	v_mfma_scale_f32_16x16x128_f8f6f4 a[8:11], v[164:167], v[16:19], a[8:11], v193, v184 op_sel_hi:[0,0,0] cbsz:4 blgp:4// 000000005BD4: D3AC6800 180371C1 D3AD8C08 842221A4
	v_mfma_scale_f32_16x16x128_f8f6f4 a[12:15], v[164:167], v[20:23], a[12:15], v193, v184 op_sel_hi:[0,0,0] cbsz:4 blgp:4// 000000005BE4: D3AC7800 180371C1 D3AD8C0C 843229A4
	ds_read_b128 v[52:55], v204 offset:9024                    // 000000005BF4: D9FE2340 340000CC
	ds_read_b32 v186, v208 offset:4608                         // 000000005BFC: D86C1200 BA0000D0
	s_waitcnt lgkmcnt(5)                                       // 000000005C04: BF8CC57F
	v_mfma_scale_f32_16x16x128_f8f6f4 a[16:19], v[152:155], v[24:27], a[16:19], v193, v185 op_sel_hi:[0,0,0] cbsz:4 blgp:4// 000000005C08: D3AC6000 000373C1 D3AD8C10 84423198
	s_add_u32 m0, 0x7380, s64                                  // 000000005C18: 807C40FF 00007380
	buffer_load_dwordx4 v195, s[12:15], 0 offen lds            // 000000005C20: E05D1000 800300C3
	v_mfma_scale_f32_16x16x128_f8f6f4 a[20:23], v[152:155], v[28:31], a[20:23], v193, v185 op_sel_hi:[0,0,0] cbsz:4 blgp:4// 000000005C28: D3AC7000 000373C1 D3AD8C14 84523998
	ds_read_b128 v[56:59], v204 offset:12672                   // 000000005C38: D9FE3180 380000CC
	v_mfma_scale_f32_16x16x128_f8f6f4 a[24:27], v[156:159], v[24:27], a[24:27], v193, v185 op_sel_hi:[0,0,0] cbsz:4 blgp:4// 000000005C40: D3AC6800 000373C1 D3AD8C18 8462319C
	v_mfma_scale_f32_16x16x128_f8f6f4 a[28:31], v[156:159], v[28:31], a[28:31], v193, v185 op_sel_hi:[0,0,0] cbsz:4 blgp:4// 000000005C50: D3AC7800 000373C1 D3AD8C1C 8472399C
	ds_read_b128 v[64:67], v204 offset:12736                   // 000000005C60: D9FE31C0 400000CC
	v_mfma_scale_f32_16x16x128_f8f6f4 a[16:19], v[160:163], v[32:35], a[16:19], v193, v185 op_sel_hi:[0,0,0] cbsz:4 blgp:4// 000000005C68: D3AC6000 180373C1 D3AD8C10 844241A0
	s_add_u32 m0, 0x8400, s64                                  // 000000005C78: 807C40FF 00008400
	buffer_load_dwordx4 v196, s[12:15], 0 offen lds            // 000000005C80: E05D1000 800300C4
	v_mfma_scale_f32_16x16x128_f8f6f4 a[20:23], v[160:163], v[36:39], a[20:23], v193, v185 op_sel_hi:[0,0,0] cbsz:4 blgp:4// 000000005C88: D3AC7000 180373C1 D3AD8C14 845249A0
	ds_read_b128 v[60:63], v204 offset:13184                   // 000000005C98: D9FE3380 3C0000CC
	v_mfma_scale_f32_16x16x128_f8f6f4 a[24:27], v[164:167], v[32:35], a[24:27], v193, v185 op_sel_hi:[0,0,0] cbsz:4 blgp:4// 000000005CA0: D3AC6800 180373C1 D3AD8C18 846241A4
	v_mfma_scale_f32_16x16x128_f8f6f4 a[28:31], v[164:167], v[36:39], a[28:31], v193, v185 op_sel_hi:[0,0,0] cbsz:4 blgp:4// 000000005CB0: D3AC7800 180373C1 D3AD8C1C 847249A4
	ds_read_b128 v[68:71], v204 offset:13248                   // 000000005CC0: D9FE33C0 440000CC
	ds_read_b32 v187, v208 offset:4864                         // 000000005CC8: D86C1300 BB0000D0
	s_waitcnt lgkmcnt(5)                                       // 000000005CD0: BF8CC57F
	v_mfma_scale_f32_16x16x128_f8f6f4 a[32:35], v[152:155], v[40:43], a[32:35], v193, v186 op_sel_hi:[0,0,0] cbsz:4 blgp:4// 000000005CD4: D3AC6000 000375C1 D3AD8C20 84825198
	s_add_u32 m0, 0x9480, s64                                  // 000000005CE4: 807C40FF 00009480
	buffer_load_dwordx4 v197, s[12:15], 0 offen lds            // 000000005CEC: E05D1000 800300C5
	v_mfma_scale_f32_16x16x128_f8f6f4 a[36:39], v[152:155], v[44:47], a[36:39], v193, v186 op_sel_hi:[0,0,0] cbsz:4 blgp:4// 000000005CF4: D3AC7000 000375C1 D3AD8C24 84925998
	ds_read_b128 v[72:75], v204 offset:16896                   // 000000005D04: D9FE4200 480000CC
	v_mfma_scale_f32_16x16x128_f8f6f4 a[40:43], v[156:159], v[40:43], a[40:43], v193, v186 op_sel_hi:[0,0,0] cbsz:4 blgp:4// 000000005D0C: D3AC6800 000375C1 D3AD8C28 84A2519C
	v_mfma_scale_f32_16x16x128_f8f6f4 a[44:47], v[156:159], v[44:47], a[44:47], v193, v186 op_sel_hi:[0,0,0] cbsz:4 blgp:4// 000000005D1C: D3AC7800 000375C1 D3AD8C2C 84B2599C
	ds_read_b128 v[80:83], v204 offset:16960                   // 000000005D2C: D9FE4240 500000CC
	v_mfma_scale_f32_16x16x128_f8f6f4 a[32:35], v[160:163], v[48:51], a[32:35], v193, v186 op_sel_hi:[0,0,0] cbsz:4 blgp:4// 000000005D34: D3AC6000 180375C1 D3AD8C20 848261A0
	s_add_u32 m0, 0xa500, s64                                  // 000000005D44: 807C40FF 0000A500
	buffer_load_dwordx4 v198, s[12:15], 0 offen lds            // 000000005D4C: E05D1000 800300C6
	v_mfma_scale_f32_16x16x128_f8f6f4 a[36:39], v[160:163], v[52:55], a[36:39], v193, v186 op_sel_hi:[0,0,0] cbsz:4 blgp:4// 000000005D54: D3AC7000 180375C1 D3AD8C24 849269A0
	ds_read_b128 v[76:79], v204 offset:17408                   // 000000005D64: D9FE4400 4C0000CC
	v_mfma_scale_f32_16x16x128_f8f6f4 a[40:43], v[164:167], v[48:51], a[40:43], v193, v186 op_sel_hi:[0,0,0] cbsz:4 blgp:4// 000000005D6C: D3AC6800 180375C1 D3AD8C28 84A261A4
	v_mfma_scale_f32_16x16x128_f8f6f4 a[44:47], v[164:167], v[52:55], a[44:47], v193, v186 op_sel_hi:[0,0,0] cbsz:4 blgp:4// 000000005D7C: D3AC7800 180375C1 D3AD8C2C 84B269A4
	ds_read_b128 v[84:87], v204 offset:17472                   // 000000005D8C: D9FE4440 540000CC
	ds_read_b32 v188, v208 offset:5120                         // 000000005D94: D86C1400 BC0000D0
	s_waitcnt lgkmcnt(5)                                       // 000000005D9C: BF8CC57F
	v_mfma_scale_f32_16x16x128_f8f6f4 a[48:51], v[152:155], v[56:59], a[48:51], v193, v187 op_sel_hi:[0,0,0] cbsz:4 blgp:4// 000000005DA0: D3AC6000 000377C1 D3AD8C30 84C27198
	s_add_u32 m0, 0xb580, s64                                  // 000000005DB0: 807C40FF 0000B580
	buffer_load_dwordx4 v199, s[12:15], 0 offen lds            // 000000005DB8: E05D1000 800300C7
	v_mfma_scale_f32_16x16x128_f8f6f4 a[52:55], v[152:155], v[60:63], a[52:55], v193, v187 op_sel_hi:[0,0,0] cbsz:4 blgp:4// 000000005DC0: D3AC7000 000377C1 D3AD8C34 84D27998
	ds_read_b128 v[88:91], v204 offset:21120                   // 000000005DD0: D9FE5280 580000CC
	v_mfma_scale_f32_16x16x128_f8f6f4 a[56:59], v[156:159], v[56:59], a[56:59], v193, v187 op_sel_hi:[0,0,0] cbsz:4 blgp:4// 000000005DD8: D3AC6800 000377C1 D3AD8C38 84E2719C
	v_mfma_scale_f32_16x16x128_f8f6f4 a[60:63], v[156:159], v[60:63], a[60:63], v193, v187 op_sel_hi:[0,0,0] cbsz:4 blgp:4// 000000005DE8: D3AC7800 000377C1 D3AD8C3C 84F2799C
	ds_read_b128 v[96:99], v204 offset:21184                   // 000000005DF8: D9FE52C0 600000CC
	v_mfma_scale_f32_16x16x128_f8f6f4 a[48:51], v[160:163], v[64:67], a[48:51], v193, v187 op_sel_hi:[0,0,0] cbsz:4 blgp:4// 000000005E00: D3AC6000 180377C1 D3AD8C30 84C281A0
	s_add_u32 m0, 0xc600, s64                                  // 000000005E10: 807C40FF 0000C600
	buffer_load_dwordx4 v200, s[12:15], 0 offen lds            // 000000005E18: E05D1000 800300C8
	v_mfma_scale_f32_16x16x128_f8f6f4 a[52:55], v[160:163], v[68:71], a[52:55], v193, v187 op_sel_hi:[0,0,0] cbsz:4 blgp:4// 000000005E20: D3AC7000 180377C1 D3AD8C34 84D289A0
	ds_read_b128 v[92:95], v204 offset:21632                   // 000000005E30: D9FE5480 5C0000CC
	v_mfma_scale_f32_16x16x128_f8f6f4 a[56:59], v[164:167], v[64:67], a[56:59], v193, v187 op_sel_hi:[0,0,0] cbsz:4 blgp:4// 000000005E38: D3AC6800 180377C1 D3AD8C38 84E281A4
	v_mfma_scale_f32_16x16x128_f8f6f4 a[60:63], v[164:167], v[68:71], a[60:63], v193, v187 op_sel_hi:[0,0,0] cbsz:4 blgp:4// 000000005E48: D3AC7800 180377C1 D3AD8C3C 84F289A4
	ds_read_b128 v[100:103], v204 offset:21696                 // 000000005E58: D9FE54C0 640000CC
	ds_read_b32 v189, v208 offset:5376                         // 000000005E60: D86C1500 BD0000D0
	s_waitcnt lgkmcnt(5)                                       // 000000005E68: BF8CC57F
	v_mfma_scale_f32_16x16x128_f8f6f4 a[64:67], v[152:155], v[72:75], a[64:67], v193, v188 op_sel_hi:[0,0,0] cbsz:4 blgp:4// 000000005E6C: D3AC6000 000379C1 D3AD8C40 85029198
	s_add_u32 m0, 0xd680, s64                                  // 000000005E7C: 807C40FF 0000D680
	buffer_load_dwordx4 v201, s[12:15], 0 offen lds            // 000000005E84: E05D1000 800300C9
	v_mfma_scale_f32_16x16x128_f8f6f4 a[68:71], v[152:155], v[76:79], a[68:71], v193, v188 op_sel_hi:[0,0,0] cbsz:4 blgp:4// 000000005E8C: D3AC7000 000379C1 D3AD8C44 85129998
	s_add_u32 s62, 0x400, s60                                  // 000000005E9C: 803E3CFF 00000400
	ds_read_b128 v[104:107], v204 offset:25344                 // 000000005EA4: D9FE6300 680000CC
	v_mfma_scale_f32_16x16x128_f8f6f4 a[72:75], v[156:159], v[72:75], a[72:75], v193, v188 op_sel_hi:[0,0,0] cbsz:4 blgp:4// 000000005EAC: D3AC6800 000379C1 D3AD8C48 8522919C
	s_cmp_lt_u32 s62, s61                                      // 000000005EBC: BF0A3D3E
	s_cselect_b32 s66, s66, 0                                  // 000000005EC0: 85428042
	v_mfma_scale_f32_16x16x128_f8f6f4 a[76:79], v[156:159], v[76:79], a[76:79], v193, v188 op_sel_hi:[0,0,0] cbsz:4 blgp:4// 000000005EC4: D3AC7800 000379C1 D3AD8C4C 8532999C
	s_cselect_b32 s68, s68, 0                                  // 000000005ED4: 85448044
	ds_read_b128 v[112:115], v204 offset:25408                 // 000000005ED8: D9FE6340 700000CC
	v_mfma_scale_f32_16x16x128_f8f6f4 a[64:67], v[160:163], v[80:83], a[64:67], v193, v188 op_sel_hi:[0,0,0] cbsz:4 blgp:4// 000000005EE0: D3AC6000 180379C1 D3AD8C40 8502A1A0
	s_add_u32 s12, s12, s66                                    // 000000005EF0: 800C420C
	buffer_load_dwordx4 v[136:139], v209, s[16:19], 0 offen    // 000000005EF4: E05C1000 800488D1
	v_mfma_scale_f32_16x16x128_f8f6f4 a[68:71], v[160:163], v[84:87], a[68:71], v193, v188 op_sel_hi:[0,0,0] cbsz:4 blgp:4// 000000005EFC: D3AC7000 180379C1 D3AD8C44 8512A9A0
	s_addc_u32 s13, 0, s13                                     // 000000005F0C: 820D0D80
	ds_read_b128 v[108:111], v204 offset:25856                 // 000000005F10: D9FE6500 6C0000CC
	v_mfma_scale_f32_16x16x128_f8f6f4 a[72:75], v[164:167], v[80:83], a[72:75], v193, v188 op_sel_hi:[0,0,0] cbsz:4 blgp:4// 000000005F18: D3AC6800 180379C1 D3AD8C48 8522A1A4
	s_sub_u32 s14, s14, s66                                    // 000000005F28: 808E420E
	s_add_u32 s20, s20, s68                                    // 000000005F2C: 80144414
	v_mfma_scale_f32_16x16x128_f8f6f4 a[76:79], v[164:167], v[84:87], a[76:79], v193, v188 op_sel_hi:[0,0,0] cbsz:4 blgp:4// 000000005F30: D3AC7800 180379C1 D3AD8C4C 8532A9A4
	s_addc_u32 s21, 0, s21                                     // 000000005F40: 82151580
	ds_read_b128 v[116:119], v204 offset:25920                 // 000000005F44: D9FE6540 740000CC
	ds_read_b32 v190, v208 offset:5632                         // 000000005F4C: D86C1600 BE0000D0
	s_waitcnt vmcnt(34) lgkmcnt(5)                             // 000000005F54: BF8C8572
	s_barrier                                                  // 000000005F58: BF8A0000
	v_mfma_scale_f32_16x16x128_f8f6f4 a[80:83], v[152:155], v[88:91], a[80:83], v193, v189 op_sel_hi:[0,0,0] cbsz:4 blgp:4// 000000005F5C: D3AC6000 00037BC1 D3AD8C50 8542B198
	s_sub_u32 s22, s22, s68                                    // 000000005F6C: 80964416
	buffer_load_dwordx4 v[140:143], v210, s[16:19], 0 offen    // 000000005F70: E05C1000 80048CD2
	v_mfma_scale_f32_16x16x128_f8f6f4 a[84:87], v[152:155], v[92:95], a[84:87], v193, v189 op_sel_hi:[0,0,0] cbsz:4 blgp:4// 000000005F78: D3AC7000 00037BC1 D3AD8C54 8552B998
	s_add_u32 s63, 0x400, s60                                  // 000000005F88: 803F3CFF 00000400
	ds_read_b128 v[8:11], v205                                 // 000000005F90: D9FE0000 080000CD
	v_mfma_scale_f32_16x16x128_f8f6f4 a[88:91], v[156:159], v[88:91], a[88:91], v193, v189 op_sel_hi:[0,0,0] cbsz:4 blgp:4// 000000005F98: D3AC6800 00037BC1 D3AD8C58 8562B19C
	s_cmp_lt_u32 s63, s61                                      // 000000005FA8: BF0A3D3F
	s_cselect_b32 s67, s67, 0                                  // 000000005FAC: 85438043
	v_mfma_scale_f32_16x16x128_f8f6f4 a[92:95], v[156:159], v[92:95], a[92:95], v193, v189 op_sel_hi:[0,0,0] cbsz:4 blgp:4// 000000005FB0: D3AC7800 00037BC1 D3AD8C5C 8572B99C
	s_cselect_b32 s69, s69, 0                                  // 000000005FC0: 85458045
	ds_read_b128 v[16:19], v205 offset:64                      // 000000005FC4: D9FE0040 100000CD
	v_mfma_scale_f32_16x16x128_f8f6f4 a[80:83], v[160:163], v[96:99], a[80:83], v193, v189 op_sel_hi:[0,0,0] cbsz:4 blgp:4// 000000005FCC: D3AC6000 18037BC1 D3AD8C50 8542C1A0
	buffer_load_dwordx4 v[144:147], v209, s[16:19], 0 offen offset:1024// 000000005FDC: E05C1400 800490D1
	v_mfma_scale_f32_16x16x128_f8f6f4 a[84:87], v[160:163], v[100:103], a[84:87], v193, v189 op_sel_hi:[0,0,0] cbsz:4 blgp:4// 000000005FE4: D3AC7000 18037BC1 D3AD8C54 8552C9A0
	ds_read_b128 v[12:15], v205 offset:512                     // 000000005FF4: D9FE0200 0C0000CD
	v_mfma_scale_f32_16x16x128_f8f6f4 a[88:91], v[164:167], v[96:99], a[88:91], v193, v189 op_sel_hi:[0,0,0] cbsz:4 blgp:4// 000000005FFC: D3AC6800 18037BC1 D3AD8C58 8562C1A4
	v_mfma_scale_f32_16x16x128_f8f6f4 a[92:95], v[164:167], v[100:103], a[92:95], v193, v189 op_sel_hi:[0,0,0] cbsz:4 blgp:4// 00000000600C: D3AC7800 18037BC1 D3AD8C5C 8572C9A4
	ds_read_b128 v[20:23], v205 offset:576                     // 00000000601C: D9FE0240 140000CD
	ds_read_b32 v184, v208 offset:6144                         // 000000006024: D86C1800 B80000D0
	s_waitcnt lgkmcnt(5)                                       // 00000000602C: BF8CC57F
	v_mfma_scale_f32_16x16x128_f8f6f4 a[96:99], v[152:155], v[104:107], a[96:99], v193, v190 op_sel_hi:[0,0,0] cbsz:4 blgp:4// 000000006030: D3AC6000 00037DC1 D3AD8C60 8582D198
	buffer_load_dwordx4 v[148:151], v210, s[16:19], 0 offen offset:1024// 000000006040: E05C1400 800494D2
	v_mfma_scale_f32_16x16x128_f8f6f4 a[100:103], v[152:155], v[108:111], a[100:103], v193, v190 op_sel_hi:[0,0,0] cbsz:4 blgp:4// 000000006048: D3AC7000 00037DC1 D3AD8C64 8592D998
	ds_read_b128 v[24:27], v205 offset:4224                    // 000000006058: D9FE1080 180000CD
	v_mfma_scale_f32_16x16x128_f8f6f4 a[104:107], v[156:159], v[104:107], a[104:107], v193, v190 op_sel_hi:[0,0,0] cbsz:4 blgp:4// 000000006060: D3AC6800 00037DC1 D3AD8C68 85A2D19C
	v_mfma_scale_f32_16x16x128_f8f6f4 a[108:111], v[156:159], v[108:111], a[108:111], v193, v190 op_sel_hi:[0,0,0] cbsz:4 blgp:4// 000000006070: D3AC7800 00037DC1 D3AD8C6C 85B2D99C
	ds_read_b128 v[32:35], v205 offset:4288                    // 000000006080: D9FE10C0 200000CD
	v_mfma_scale_f32_16x16x128_f8f6f4 a[96:99], v[160:163], v[112:115], a[96:99], v193, v190 op_sel_hi:[0,0,0] cbsz:4 blgp:4// 000000006088: D3AC6000 18037DC1 D3AD8C60 8582E1A0
	buffer_load_dword v192, v211, s[24:27], 0 offen            // 000000006098: E0501000 8006C0D3
	v_mfma_scale_f32_16x16x128_f8f6f4 a[100:103], v[160:163], v[116:119], a[100:103], v193, v190 op_sel_hi:[0,0,0] cbsz:4 blgp:4// 0000000060A0: D3AC7000 18037DC1 D3AD8C64 8592E9A0
	s_add_u32 s16, s16, s67                                    // 0000000060B0: 80104310
	ds_read_b128 v[28:31], v205 offset:4736                    // 0000000060B4: D9FE1280 1C0000CD
	v_mfma_scale_f32_16x16x128_f8f6f4 a[104:107], v[164:167], v[112:115], a[104:107], v193, v190 op_sel_hi:[0,0,0] cbsz:4 blgp:4// 0000000060BC: D3AC6800 18037DC1 D3AD8C68 85A2E1A4
	s_addc_u32 s17, 0, s17                                     // 0000000060CC: 82111180
	s_sub_u32 s18, s18, s67                                    // 0000000060D0: 80924312
	v_mfma_scale_f32_16x16x128_f8f6f4 a[108:111], v[164:167], v[116:119], a[108:111], v193, v190 op_sel_hi:[0,0,0] cbsz:4 blgp:4// 0000000060D4: D3AC7800 18037DC1 D3AD8C6C 85B2E9A4
	s_add_u32 s24, s24, s69                                    // 0000000060E4: 80184518
	ds_read_b128 v[36:39], v205 offset:4800                    // 0000000060E8: D9FE12C0 240000CD
	ds_read_b32 v185, v208 offset:6400                         // 0000000060F0: D86C1900 B90000D0
	s_addc_u32 s25, 0, s25                                     // 0000000060F8: 82191980
	s_sub_u32 s26, s26, s69                                    // 0000000060FC: 809A451A
	s_addk_i32 s60, 0x100                                      // 000000006100: B73C0100
	s_cmp_lt_i32 s60, s61                                      // 000000006104: BF043D3C
	s_cbranch_scc0 label_0EBA                                  // 000000006108: BF840177
	s_waitcnt vmcnt(28) lgkmcnt(5)                             // 00000000610C: BF8C457C
	s_barrier                                                  // 000000006110: BF8A0000
	v_mfma_scale_f32_16x16x128_f8f6f4 a[0:3], v[168:171], v[8:11], a[0:3], v194, v184 op_sel_hi:[0,0,0] cbsz:4 blgp:4// 000000006114: D3AC6000 000371C2 D3AD8C00 840211A8
	s_add_u32 m0, 0x1000, s65                                  // 000000006124: 807C41FF 00001000
	buffer_load_dword v206, s[20:23], 0 offen lds              // 00000000612C: E0511000 800500CE
	v_mfma_scale_f32_16x16x128_f8f6f4 a[4:7], v[168:171], v[12:15], a[4:7], v194, v184 op_sel_hi:[0,0,0] cbsz:4 blgp:4// 000000006134: D3AC7000 000371C2 D3AD8C04 841219A8
	ds_read_b128 v[40:43], v205 offset:8448                    // 000000006144: D9FE2100 280000CD
	v_mfma_scale_f32_16x16x128_f8f6f4 a[8:11], v[172:175], v[8:11], a[8:11], v194, v184 op_sel_hi:[0,0,0] cbsz:4 blgp:4// 00000000614C: D3AC6800 000371C2 D3AD8C08 842211AC
	v_mfma_scale_f32_16x16x128_f8f6f4 a[12:15], v[172:175], v[12:15], a[12:15], v194, v184 op_sel_hi:[0,0,0] cbsz:4 blgp:4// 00000000615C: D3AC7800 000371C2 D3AD8C0C 843219AC
	ds_read_b128 v[48:51], v205 offset:8512                    // 00000000616C: D9FE2140 300000CD
	v_mfma_scale_f32_16x16x128_f8f6f4 a[0:3], v[176:179], v[16:19], a[0:3], v194, v184 op_sel_hi:[0,0,0] cbsz:4 blgp:4// 000000006174: D3AC6000 180371C2 D3AD8C00 840221B0
	s_add_u32 m0, 0x1400, s65                                  // 000000006184: 807C41FF 00001400
	buffer_load_dword v207, s[20:23], 0 offen lds              // 00000000618C: E0511000 800500CF
	v_mfma_scale_f32_16x16x128_f8f6f4 a[4:7], v[176:179], v[20:23], a[4:7], v194, v184 op_sel_hi:[0,0,0] cbsz:4 blgp:4// 000000006194: D3AC7000 180371C2 D3AD8C04 841229B0
	ds_read_b128 v[44:47], v205 offset:8960                    // 0000000061A4: D9FE2300 2C0000CD
	v_mfma_scale_f32_16x16x128_f8f6f4 a[8:11], v[180:183], v[16:19], a[8:11], v194, v184 op_sel_hi:[0,0,0] cbsz:4 blgp:4// 0000000061AC: D3AC6800 180371C2 D3AD8C08 842221B4
	v_mfma_scale_f32_16x16x128_f8f6f4 a[12:15], v[180:183], v[20:23], a[12:15], v194, v184 op_sel_hi:[0,0,0] cbsz:4 blgp:4// 0000000061BC: D3AC7800 180371C2 D3AD8C0C 843229B4
	ds_read_b128 v[52:55], v205 offset:9024                    // 0000000061CC: D9FE2340 340000CD
	ds_read_b32 v186, v208 offset:6656                         // 0000000061D4: D86C1A00 BA0000D0
	s_waitcnt lgkmcnt(5)                                       // 0000000061DC: BF8CC57F
	v_mfma_scale_f32_16x16x128_f8f6f4 a[16:19], v[168:171], v[24:27], a[16:19], v194, v185 op_sel_hi:[0,0,0] cbsz:4 blgp:4// 0000000061E0: D3AC6000 000373C2 D3AD8C10 844231A8
	s_add_u32 m0, 0xe700, s64                                  // 0000000061F0: 807C40FF 0000E700
	buffer_load_dwordx4 v195, s[12:15], 0 offen lds            // 0000000061F8: E05D1000 800300C3
	v_mfma_scale_f32_16x16x128_f8f6f4 a[20:23], v[168:171], v[28:31], a[20:23], v194, v185 op_sel_hi:[0,0,0] cbsz:4 blgp:4// 000000006200: D3AC7000 000373C2 D3AD8C14 845239A8
	ds_read_b128 v[56:59], v205 offset:12672                   // 000000006210: D9FE3180 380000CD
	v_mfma_scale_f32_16x16x128_f8f6f4 a[24:27], v[172:175], v[24:27], a[24:27], v194, v185 op_sel_hi:[0,0,0] cbsz:4 blgp:4// 000000006218: D3AC6800 000373C2 D3AD8C18 846231AC
	v_mfma_scale_f32_16x16x128_f8f6f4 a[28:31], v[172:175], v[28:31], a[28:31], v194, v185 op_sel_hi:[0,0,0] cbsz:4 blgp:4// 000000006228: D3AC7800 000373C2 D3AD8C1C 847239AC
	ds_read_b128 v[64:67], v205 offset:12736                   // 000000006238: D9FE31C0 400000CD
	v_mfma_scale_f32_16x16x128_f8f6f4 a[16:19], v[176:179], v[32:35], a[16:19], v194, v185 op_sel_hi:[0,0,0] cbsz:4 blgp:4// 000000006240: D3AC6000 180373C2 D3AD8C10 844241B0
	s_add_u32 m0, 0xf780, s64                                  // 000000006250: 807C40FF 0000F780
	buffer_load_dwordx4 v196, s[12:15], 0 offen lds            // 000000006258: E05D1000 800300C4
	v_mfma_scale_f32_16x16x128_f8f6f4 a[20:23], v[176:179], v[36:39], a[20:23], v194, v185 op_sel_hi:[0,0,0] cbsz:4 blgp:4// 000000006260: D3AC7000 180373C2 D3AD8C14 845249B0
	ds_read_b128 v[60:63], v205 offset:13184                   // 000000006270: D9FE3380 3C0000CD
	v_mfma_scale_f32_16x16x128_f8f6f4 a[24:27], v[180:183], v[32:35], a[24:27], v194, v185 op_sel_hi:[0,0,0] cbsz:4 blgp:4// 000000006278: D3AC6800 180373C2 D3AD8C18 846241B4
	v_mfma_scale_f32_16x16x128_f8f6f4 a[28:31], v[180:183], v[36:39], a[28:31], v194, v185 op_sel_hi:[0,0,0] cbsz:4 blgp:4// 000000006288: D3AC7800 180373C2 D3AD8C1C 847249B4
	ds_read_b128 v[68:71], v205 offset:13248                   // 000000006298: D9FE33C0 440000CD
	ds_read_b32 v187, v208 offset:6912                         // 0000000062A0: D86C1B00 BB0000D0
	s_waitcnt lgkmcnt(5)                                       // 0000000062A8: BF8CC57F
	v_mfma_scale_f32_16x16x128_f8f6f4 a[32:35], v[168:171], v[40:43], a[32:35], v194, v186 op_sel_hi:[0,0,0] cbsz:4 blgp:4// 0000000062AC: D3AC6000 000375C2 D3AD8C20 848251A8
	s_add_u32 m0, 0x10800, s64                                 // 0000000062BC: 807C40FF 00010800
	buffer_load_dwordx4 v197, s[12:15], 0 offen lds            // 0000000062C4: E05D1000 800300C5
	v_mfma_scale_f32_16x16x128_f8f6f4 a[36:39], v[168:171], v[44:47], a[36:39], v194, v186 op_sel_hi:[0,0,0] cbsz:4 blgp:4// 0000000062CC: D3AC7000 000375C2 D3AD8C24 849259A8
	ds_read_b128 v[72:75], v205 offset:16896                   // 0000000062DC: D9FE4200 480000CD
	v_mfma_scale_f32_16x16x128_f8f6f4 a[40:43], v[172:175], v[40:43], a[40:43], v194, v186 op_sel_hi:[0,0,0] cbsz:4 blgp:4// 0000000062E4: D3AC6800 000375C2 D3AD8C28 84A251AC
	v_mfma_scale_f32_16x16x128_f8f6f4 a[44:47], v[172:175], v[44:47], a[44:47], v194, v186 op_sel_hi:[0,0,0] cbsz:4 blgp:4// 0000000062F4: D3AC7800 000375C2 D3AD8C2C 84B259AC
	ds_read_b128 v[80:83], v205 offset:16960                   // 000000006304: D9FE4240 500000CD
	v_mfma_scale_f32_16x16x128_f8f6f4 a[32:35], v[176:179], v[48:51], a[32:35], v194, v186 op_sel_hi:[0,0,0] cbsz:4 blgp:4// 00000000630C: D3AC6000 180375C2 D3AD8C20 848261B0
	s_add_u32 m0, 0x11880, s64                                 // 00000000631C: 807C40FF 00011880
	buffer_load_dwordx4 v198, s[12:15], 0 offen lds            // 000000006324: E05D1000 800300C6
	v_mfma_scale_f32_16x16x128_f8f6f4 a[36:39], v[176:179], v[52:55], a[36:39], v194, v186 op_sel_hi:[0,0,0] cbsz:4 blgp:4// 00000000632C: D3AC7000 180375C2 D3AD8C24 849269B0
	ds_read_b128 v[76:79], v205 offset:17408                   // 00000000633C: D9FE4400 4C0000CD
	v_mfma_scale_f32_16x16x128_f8f6f4 a[40:43], v[180:183], v[48:51], a[40:43], v194, v186 op_sel_hi:[0,0,0] cbsz:4 blgp:4// 000000006344: D3AC6800 180375C2 D3AD8C28 84A261B4
	v_mfma_scale_f32_16x16x128_f8f6f4 a[44:47], v[180:183], v[52:55], a[44:47], v194, v186 op_sel_hi:[0,0,0] cbsz:4 blgp:4// 000000006354: D3AC7800 180375C2 D3AD8C2C 84B269B4
	ds_read_b128 v[84:87], v205 offset:17472                   // 000000006364: D9FE4440 540000CD
	ds_read_b32 v188, v208 offset:7168                         // 00000000636C: D86C1C00 BC0000D0
	s_waitcnt lgkmcnt(5)                                       // 000000006374: BF8CC57F
	v_mfma_scale_f32_16x16x128_f8f6f4 a[48:51], v[168:171], v[56:59], a[48:51], v194, v187 op_sel_hi:[0,0,0] cbsz:4 blgp:4// 000000006378: D3AC6000 000377C2 D3AD8C30 84C271A8
	s_add_u32 m0, 0x12900, s64                                 // 000000006388: 807C40FF 00012900
	buffer_load_dwordx4 v199, s[12:15], 0 offen lds            // 000000006390: E05D1000 800300C7
	v_mfma_scale_f32_16x16x128_f8f6f4 a[52:55], v[168:171], v[60:63], a[52:55], v194, v187 op_sel_hi:[0,0,0] cbsz:4 blgp:4// 000000006398: D3AC7000 000377C2 D3AD8C34 84D279A8
	ds_read_b128 v[88:91], v205 offset:21120                   // 0000000063A8: D9FE5280 580000CD
	v_mfma_scale_f32_16x16x128_f8f6f4 a[56:59], v[172:175], v[56:59], a[56:59], v194, v187 op_sel_hi:[0,0,0] cbsz:4 blgp:4// 0000000063B0: D3AC6800 000377C2 D3AD8C38 84E271AC
	v_mfma_scale_f32_16x16x128_f8f6f4 a[60:63], v[172:175], v[60:63], a[60:63], v194, v187 op_sel_hi:[0,0,0] cbsz:4 blgp:4// 0000000063C0: D3AC7800 000377C2 D3AD8C3C 84F279AC
	ds_read_b128 v[96:99], v205 offset:21184                   // 0000000063D0: D9FE52C0 600000CD
	v_mfma_scale_f32_16x16x128_f8f6f4 a[48:51], v[176:179], v[64:67], a[48:51], v194, v187 op_sel_hi:[0,0,0] cbsz:4 blgp:4// 0000000063D8: D3AC6000 180377C2 D3AD8C30 84C281B0
	s_add_u32 m0, 0x13980, s64                                 // 0000000063E8: 807C40FF 00013980
	buffer_load_dwordx4 v200, s[12:15], 0 offen lds            // 0000000063F0: E05D1000 800300C8
	v_mfma_scale_f32_16x16x128_f8f6f4 a[52:55], v[176:179], v[68:71], a[52:55], v194, v187 op_sel_hi:[0,0,0] cbsz:4 blgp:4// 0000000063F8: D3AC7000 180377C2 D3AD8C34 84D289B0
	ds_read_b128 v[92:95], v205 offset:21632                   // 000000006408: D9FE5480 5C0000CD
	v_mfma_scale_f32_16x16x128_f8f6f4 a[56:59], v[180:183], v[64:67], a[56:59], v194, v187 op_sel_hi:[0,0,0] cbsz:4 blgp:4// 000000006410: D3AC6800 180377C2 D3AD8C38 84E281B4
	v_mfma_scale_f32_16x16x128_f8f6f4 a[60:63], v[180:183], v[68:71], a[60:63], v194, v187 op_sel_hi:[0,0,0] cbsz:4 blgp:4// 000000006420: D3AC7800 180377C2 D3AD8C3C 84F289B4
	ds_read_b128 v[100:103], v205 offset:21696                 // 000000006430: D9FE54C0 640000CD
	ds_read_b32 v189, v208 offset:7424                         // 000000006438: D86C1D00 BD0000D0
	s_waitcnt lgkmcnt(5)                                       // 000000006440: BF8CC57F
	v_mfma_scale_f32_16x16x128_f8f6f4 a[64:67], v[168:171], v[72:75], a[64:67], v194, v188 op_sel_hi:[0,0,0] cbsz:4 blgp:4// 000000006444: D3AC6000 000379C2 D3AD8C40 850291A8
	s_add_u32 m0, 0x14a00, s64                                 // 000000006454: 807C40FF 00014A00
	buffer_load_dwordx4 v201, s[12:15], 0 offen lds            // 00000000645C: E05D1000 800300C9
	v_mfma_scale_f32_16x16x128_f8f6f4 a[68:71], v[168:171], v[76:79], a[68:71], v194, v188 op_sel_hi:[0,0,0] cbsz:4 blgp:4// 000000006464: D3AC7000 000379C2 D3AD8C44 851299A8
	s_add_u32 s62, 0x400, s60                                  // 000000006474: 803E3CFF 00000400
	ds_read_b128 v[104:107], v205 offset:25344                 // 00000000647C: D9FE6300 680000CD
	v_mfma_scale_f32_16x16x128_f8f6f4 a[72:75], v[172:175], v[72:75], a[72:75], v194, v188 op_sel_hi:[0,0,0] cbsz:4 blgp:4// 000000006484: D3AC6800 000379C2 D3AD8C48 852291AC
	s_cmp_lt_u32 s62, s61                                      // 000000006494: BF0A3D3E
	s_cselect_b32 s66, s66, 0                                  // 000000006498: 85428042
	v_mfma_scale_f32_16x16x128_f8f6f4 a[76:79], v[172:175], v[76:79], a[76:79], v194, v188 op_sel_hi:[0,0,0] cbsz:4 blgp:4// 00000000649C: D3AC7800 000379C2 D3AD8C4C 853299AC
	s_cselect_b32 s68, s68, 0                                  // 0000000064AC: 85448044
	ds_read_b128 v[112:115], v205 offset:25408                 // 0000000064B0: D9FE6340 700000CD
	v_mfma_scale_f32_16x16x128_f8f6f4 a[64:67], v[176:179], v[80:83], a[64:67], v194, v188 op_sel_hi:[0,0,0] cbsz:4 blgp:4// 0000000064B8: D3AC6000 180379C2 D3AD8C40 8502A1B0
	s_add_u32 s12, s12, s66                                    // 0000000064C8: 800C420C
	buffer_load_dwordx4 v[152:155], v209, s[16:19], 0 offen    // 0000000064CC: E05C1000 800498D1
	v_mfma_scale_f32_16x16x128_f8f6f4 a[68:71], v[176:179], v[84:87], a[68:71], v194, v188 op_sel_hi:[0,0,0] cbsz:4 blgp:4// 0000000064D4: D3AC7000 180379C2 D3AD8C44 8512A9B0
	s_addc_u32 s13, 0, s13                                     // 0000000064E4: 820D0D80
	ds_read_b128 v[108:111], v205 offset:25856                 // 0000000064E8: D9FE6500 6C0000CD
	v_mfma_scale_f32_16x16x128_f8f6f4 a[72:75], v[180:183], v[80:83], a[72:75], v194, v188 op_sel_hi:[0,0,0] cbsz:4 blgp:4// 0000000064F0: D3AC6800 180379C2 D3AD8C48 8522A1B4
	s_sub_u32 s14, s14, s66                                    // 000000006500: 808E420E
	s_add_u32 s20, s20, s68                                    // 000000006504: 80144414
	v_mfma_scale_f32_16x16x128_f8f6f4 a[76:79], v[180:183], v[84:87], a[76:79], v194, v188 op_sel_hi:[0,0,0] cbsz:4 blgp:4// 000000006508: D3AC7800 180379C2 D3AD8C4C 8532A9B4
	s_addc_u32 s21, 0, s21                                     // 000000006518: 82151580
	ds_read_b128 v[116:119], v205 offset:25920                 // 00000000651C: D9FE6540 740000CD
	ds_read_b32 v190, v208 offset:7680                         // 000000006524: D86C1E00 BE0000D0
	s_waitcnt vmcnt(34) lgkmcnt(5)                             // 00000000652C: BF8C8572
	s_barrier                                                  // 000000006530: BF8A0000
	v_mfma_scale_f32_16x16x128_f8f6f4 a[80:83], v[168:171], v[88:91], a[80:83], v194, v189 op_sel_hi:[0,0,0] cbsz:4 blgp:4// 000000006534: D3AC6000 00037BC2 D3AD8C50 8542B1A8
	s_sub_u32 s22, s22, s68                                    // 000000006544: 80964416
	buffer_load_dwordx4 v[156:159], v210, s[16:19], 0 offen    // 000000006548: E05C1000 80049CD2
	v_mfma_scale_f32_16x16x128_f8f6f4 a[84:87], v[168:171], v[92:95], a[84:87], v194, v189 op_sel_hi:[0,0,0] cbsz:4 blgp:4// 000000006550: D3AC7000 00037BC2 D3AD8C54 8552B9A8
	s_add_u32 s63, 0x400, s60                                  // 000000006560: 803F3CFF 00000400
	ds_read_b128 v[8:11], v202                                 // 000000006568: D9FE0000 080000CA
	v_mfma_scale_f32_16x16x128_f8f6f4 a[88:91], v[172:175], v[88:91], a[88:91], v194, v189 op_sel_hi:[0,0,0] cbsz:4 blgp:4// 000000006570: D3AC6800 00037BC2 D3AD8C58 8562B1AC
	s_cmp_lt_u32 s63, s61                                      // 000000006580: BF0A3D3F
	s_cselect_b32 s67, s67, 0                                  // 000000006584: 85438043
	v_mfma_scale_f32_16x16x128_f8f6f4 a[92:95], v[172:175], v[92:95], a[92:95], v194, v189 op_sel_hi:[0,0,0] cbsz:4 blgp:4// 000000006588: D3AC7800 00037BC2 D3AD8C5C 8572B9AC
	s_cselect_b32 s69, s69, 0                                  // 000000006598: 85458045
	ds_read_b128 v[16:19], v202 offset:64                      // 00000000659C: D9FE0040 100000CA
	v_mfma_scale_f32_16x16x128_f8f6f4 a[80:83], v[176:179], v[96:99], a[80:83], v194, v189 op_sel_hi:[0,0,0] cbsz:4 blgp:4// 0000000065A4: D3AC6000 18037BC2 D3AD8C50 8542C1B0
	buffer_load_dwordx4 v[160:163], v209, s[16:19], 0 offen offset:1024// 0000000065B4: E05C1400 8004A0D1
	v_mfma_scale_f32_16x16x128_f8f6f4 a[84:87], v[176:179], v[100:103], a[84:87], v194, v189 op_sel_hi:[0,0,0] cbsz:4 blgp:4// 0000000065BC: D3AC7000 18037BC2 D3AD8C54 8552C9B0
	ds_read_b128 v[12:15], v202 offset:512                     // 0000000065CC: D9FE0200 0C0000CA
	v_mfma_scale_f32_16x16x128_f8f6f4 a[88:91], v[180:183], v[96:99], a[88:91], v194, v189 op_sel_hi:[0,0,0] cbsz:4 blgp:4// 0000000065D4: D3AC6800 18037BC2 D3AD8C58 8562C1B4
	v_mfma_scale_f32_16x16x128_f8f6f4 a[92:95], v[180:183], v[100:103], a[92:95], v194, v189 op_sel_hi:[0,0,0] cbsz:4 blgp:4// 0000000065E4: D3AC7800 18037BC2 D3AD8C5C 8572C9B4
	ds_read_b128 v[20:23], v202 offset:576                     // 0000000065F4: D9FE0240 140000CA
	ds_read_b32 v184, v208                                     // 0000000065FC: D86C0000 B80000D0
	s_waitcnt lgkmcnt(5)                                       // 000000006604: BF8CC57F
	v_mfma_scale_f32_16x16x128_f8f6f4 a[96:99], v[168:171], v[104:107], a[96:99], v194, v190 op_sel_hi:[0,0,0] cbsz:4 blgp:4// 000000006608: D3AC6000 00037DC2 D3AD8C60 8582D1A8
	buffer_load_dwordx4 v[164:167], v210, s[16:19], 0 offen offset:1024// 000000006618: E05C1400 8004A4D2
	v_mfma_scale_f32_16x16x128_f8f6f4 a[100:103], v[168:171], v[108:111], a[100:103], v194, v190 op_sel_hi:[0,0,0] cbsz:4 blgp:4// 000000006620: D3AC7000 00037DC2 D3AD8C64 8592D9A8
	ds_read_b128 v[24:27], v202 offset:4224                    // 000000006630: D9FE1080 180000CA
	v_mfma_scale_f32_16x16x128_f8f6f4 a[104:107], v[172:175], v[104:107], a[104:107], v194, v190 op_sel_hi:[0,0,0] cbsz:4 blgp:4// 000000006638: D3AC6800 00037DC2 D3AD8C68 85A2D1AC
	v_mfma_scale_f32_16x16x128_f8f6f4 a[108:111], v[172:175], v[108:111], a[108:111], v194, v190 op_sel_hi:[0,0,0] cbsz:4 blgp:4// 000000006648: D3AC7800 00037DC2 D3AD8C6C 85B2D9AC
	ds_read_b128 v[32:35], v202 offset:4288                    // 000000006658: D9FE10C0 200000CA
	v_mfma_scale_f32_16x16x128_f8f6f4 a[96:99], v[176:179], v[112:115], a[96:99], v194, v190 op_sel_hi:[0,0,0] cbsz:4 blgp:4// 000000006660: D3AC6000 18037DC2 D3AD8C60 8582E1B0
	buffer_load_dword v193, v211, s[24:27], 0 offen            // 000000006670: E0501000 8006C1D3
	v_mfma_scale_f32_16x16x128_f8f6f4 a[100:103], v[176:179], v[116:119], a[100:103], v194, v190 op_sel_hi:[0,0,0] cbsz:4 blgp:4// 000000006678: D3AC7000 18037DC2 D3AD8C64 8592E9B0
	s_add_u32 s16, s16, s67                                    // 000000006688: 80104310
	ds_read_b128 v[28:31], v202 offset:4736                    // 00000000668C: D9FE1280 1C0000CA
	v_mfma_scale_f32_16x16x128_f8f6f4 a[104:107], v[180:183], v[112:115], a[104:107], v194, v190 op_sel_hi:[0,0,0] cbsz:4 blgp:4// 000000006694: D3AC6800 18037DC2 D3AD8C68 85A2E1B4
	s_addc_u32 s17, 0, s17                                     // 0000000066A4: 82111180
	s_sub_u32 s18, s18, s67                                    // 0000000066A8: 80924312
	v_mfma_scale_f32_16x16x128_f8f6f4 a[108:111], v[180:183], v[116:119], a[108:111], v194, v190 op_sel_hi:[0,0,0] cbsz:4 blgp:4// 0000000066AC: D3AC7800 18037DC2 D3AD8C6C 85B2E9B4
	s_add_u32 s24, s24, s69                                    // 0000000066BC: 80184518
	ds_read_b128 v[36:39], v202 offset:4800                    // 0000000066C0: D9FE12C0 240000CA
	ds_read_b32 v185, v208 offset:256                          // 0000000066C8: D86C0100 B90000D0
	s_addc_u32 s25, 0, s25                                     // 0000000066D0: 82191980
	s_sub_u32 s26, s26, s69                                    // 0000000066D4: 809A451A
	s_addk_i32 s60, 0x100                                      // 0000000066D8: B73C0100
	s_cmp_lt_i32 s60, s61                                      // 0000000066DC: BF043D3C
	s_cbranch_scc0 label_0EBA                                  // 0000000066E0: BF840001
	s_branch label_08E3                                        // 0000000066E4: BF82FA29

00000000000066e8 <label_0EBA>:
	s_waitcnt lgkmcnt(0)                                       // 0000000066E8: BF8CC07F
	s_mul_i32 s62, s47, 0x80                                   // 0000000066EC: 923EFF2F 00000080
	s_mul_i32 s63, s46, 32                                     // 0000000066F4: 923FA02E
	s_add_u32 s60, s62, s63                                    // 0000000066F8: 803C3F3E
	s_add_u32 s62, s60, 32                                     // 0000000066FC: 803EA03C
	s_cmp_lt_i32 s44, s62                                      // 000000006700: BF043E2C
	s_cbranch_scc1 label_1085                                  // 000000006704: BF8501C3
	s_mul_i32 s62, s36, 16                                     // 000000006708: 923E9024
	v_add_u32_e32 v216, 0, v212                                // 00000000670C: 69B1A880
	v_accvgpr_read_b32 v8, a0                                  // 000000006710: D3D84008 18000100
	v_accvgpr_read_b32 v9, a1                                  // 000000006718: D3D84009 18000101
	v_accvgpr_read_b32 v10, a2                                 // 000000006720: D3D8400A 18000102
	v_accvgpr_read_b32 v11, a3                                 // 000000006728: D3D8400B 18000103
	v_accvgpr_read_b32 v12, a8                                 // 000000006730: D3D8400C 18000108
	v_accvgpr_read_b32 v13, a9                                 // 000000006738: D3D8400D 18000109
	v_accvgpr_read_b32 v14, a10                                // 000000006740: D3D8400E 1800010A
	v_accvgpr_read_b32 v15, a11                                // 000000006748: D3D8400F 1800010B
	v_cvt_pk_bf16_f32 v16, v8, v9                              // 000000006750: D2680010 00021308
	v_cvt_pk_bf16_f32 v17, v10, v11                            // 000000006758: D2680011 0002170A
	v_cvt_pk_bf16_f32 v18, v12, v13                            // 000000006760: D2680012 00021B0C
	v_cvt_pk_bf16_f32 v19, v14, v15                            // 000000006768: D2680013 00021F0E
	s_nop 1                                                    // 000000006770: BF800001
	v_permlane16_swap_b32_e32 v16, v18                         // 000000006774: 7E20B312
	s_nop 1                                                    // 000000006778: BF800001
	v_permlane16_swap_b32_e32 v17, v19                         // 00000000677C: 7E22B313
	s_nop 1                                                    // 000000006780: BF800001
	buffer_store_dwordx4 v[16:19], v216, s[4:7], 0 offen       // 000000006784: E07C1000 800110D8
	v_add_u32_e32 v216, s62, v216                              // 00000000678C: 69B1B03E
	v_accvgpr_read_b32 v8, a4                                  // 000000006790: D3D84008 18000104
	v_accvgpr_read_b32 v9, a5                                  // 000000006798: D3D84009 18000105
	v_accvgpr_read_b32 v10, a6                                 // 0000000067A0: D3D8400A 18000106
	v_accvgpr_read_b32 v11, a7                                 // 0000000067A8: D3D8400B 18000107
	v_accvgpr_read_b32 v12, a12                                // 0000000067B0: D3D8400C 1800010C
	v_accvgpr_read_b32 v13, a13                                // 0000000067B8: D3D8400D 1800010D
	v_accvgpr_read_b32 v14, a14                                // 0000000067C0: D3D8400E 1800010E
	v_accvgpr_read_b32 v15, a15                                // 0000000067C8: D3D8400F 1800010F
	v_cvt_pk_bf16_f32 v16, v8, v9                              // 0000000067D0: D2680010 00021308
	v_cvt_pk_bf16_f32 v17, v10, v11                            // 0000000067D8: D2680011 0002170A
	v_cvt_pk_bf16_f32 v18, v12, v13                            // 0000000067E0: D2680012 00021B0C
	v_cvt_pk_bf16_f32 v19, v14, v15                            // 0000000067E8: D2680013 00021F0E
	s_nop 1                                                    // 0000000067F0: BF800001
	v_permlane16_swap_b32_e32 v16, v18                         // 0000000067F4: 7E20B312
	s_nop 1                                                    // 0000000067F8: BF800001
	v_permlane16_swap_b32_e32 v17, v19                         // 0000000067FC: 7E22B313
	s_nop 1                                                    // 000000006800: BF800001
	buffer_store_dwordx4 v[16:19], v216, s[4:7], 0 offen       // 000000006804: E07C1000 800110D8
	v_add_u32_e32 v216, s62, v216                              // 00000000680C: 69B1B03E
	v_accvgpr_read_b32 v8, a16                                 // 000000006810: D3D84008 18000110
	v_accvgpr_read_b32 v9, a17                                 // 000000006818: D3D84009 18000111
	v_accvgpr_read_b32 v10, a18                                // 000000006820: D3D8400A 18000112
	v_accvgpr_read_b32 v11, a19                                // 000000006828: D3D8400B 18000113
	v_accvgpr_read_b32 v12, a24                                // 000000006830: D3D8400C 18000118
	v_accvgpr_read_b32 v13, a25                                // 000000006838: D3D8400D 18000119
	v_accvgpr_read_b32 v14, a26                                // 000000006840: D3D8400E 1800011A
	v_accvgpr_read_b32 v15, a27                                // 000000006848: D3D8400F 1800011B
	v_cvt_pk_bf16_f32 v16, v8, v9                              // 000000006850: D2680010 00021308
	v_cvt_pk_bf16_f32 v17, v10, v11                            // 000000006858: D2680011 0002170A
	v_cvt_pk_bf16_f32 v18, v12, v13                            // 000000006860: D2680012 00021B0C
	v_cvt_pk_bf16_f32 v19, v14, v15                            // 000000006868: D2680013 00021F0E
	s_nop 1                                                    // 000000006870: BF800001
	v_permlane16_swap_b32_e32 v16, v18                         // 000000006874: 7E20B312
	s_nop 1                                                    // 000000006878: BF800001
	v_permlane16_swap_b32_e32 v17, v19                         // 00000000687C: 7E22B313
	s_nop 1                                                    // 000000006880: BF800001
	buffer_store_dwordx4 v[16:19], v216, s[4:7], 0 offen       // 000000006884: E07C1000 800110D8
	v_add_u32_e32 v216, s62, v216                              // 00000000688C: 69B1B03E
	v_accvgpr_read_b32 v8, a20                                 // 000000006890: D3D84008 18000114
	v_accvgpr_read_b32 v9, a21                                 // 000000006898: D3D84009 18000115
	v_accvgpr_read_b32 v10, a22                                // 0000000068A0: D3D8400A 18000116
	v_accvgpr_read_b32 v11, a23                                // 0000000068A8: D3D8400B 18000117
	v_accvgpr_read_b32 v12, a28                                // 0000000068B0: D3D8400C 1800011C
	v_accvgpr_read_b32 v13, a29                                // 0000000068B8: D3D8400D 1800011D
	v_accvgpr_read_b32 v14, a30                                // 0000000068C0: D3D8400E 1800011E
	v_accvgpr_read_b32 v15, a31                                // 0000000068C8: D3D8400F 1800011F
	v_cvt_pk_bf16_f32 v16, v8, v9                              // 0000000068D0: D2680010 00021308
	v_cvt_pk_bf16_f32 v17, v10, v11                            // 0000000068D8: D2680011 0002170A
	v_cvt_pk_bf16_f32 v18, v12, v13                            // 0000000068E0: D2680012 00021B0C
	v_cvt_pk_bf16_f32 v19, v14, v15                            // 0000000068E8: D2680013 00021F0E
	s_nop 1                                                    // 0000000068F0: BF800001
	v_permlane16_swap_b32_e32 v16, v18                         // 0000000068F4: 7E20B312
	s_nop 1                                                    // 0000000068F8: BF800001
	v_permlane16_swap_b32_e32 v17, v19                         // 0000000068FC: 7E22B313
	s_nop 1                                                    // 000000006900: BF800001
	buffer_store_dwordx4 v[16:19], v216, s[4:7], 0 offen       // 000000006904: E07C1000 800110D8
	v_add_u32_e32 v216, s62, v216                              // 00000000690C: 69B1B03E
	v_accvgpr_read_b32 v8, a32                                 // 000000006910: D3D84008 18000120
	v_accvgpr_read_b32 v9, a33                                 // 000000006918: D3D84009 18000121
	v_accvgpr_read_b32 v10, a34                                // 000000006920: D3D8400A 18000122
	v_accvgpr_read_b32 v11, a35                                // 000000006928: D3D8400B 18000123
	v_accvgpr_read_b32 v12, a40                                // 000000006930: D3D8400C 18000128
	v_accvgpr_read_b32 v13, a41                                // 000000006938: D3D8400D 18000129
	v_accvgpr_read_b32 v14, a42                                // 000000006940: D3D8400E 1800012A
	v_accvgpr_read_b32 v15, a43                                // 000000006948: D3D8400F 1800012B
	v_cvt_pk_bf16_f32 v16, v8, v9                              // 000000006950: D2680010 00021308
	v_cvt_pk_bf16_f32 v17, v10, v11                            // 000000006958: D2680011 0002170A
	v_cvt_pk_bf16_f32 v18, v12, v13                            // 000000006960: D2680012 00021B0C
	v_cvt_pk_bf16_f32 v19, v14, v15                            // 000000006968: D2680013 00021F0E
	s_nop 1                                                    // 000000006970: BF800001
	v_permlane16_swap_b32_e32 v16, v18                         // 000000006974: 7E20B312
	s_nop 1                                                    // 000000006978: BF800001
	v_permlane16_swap_b32_e32 v17, v19                         // 00000000697C: 7E22B313
	s_nop 1                                                    // 000000006980: BF800001
	buffer_store_dwordx4 v[16:19], v216, s[4:7], 0 offen       // 000000006984: E07C1000 800110D8
	v_add_u32_e32 v216, s62, v216                              // 00000000698C: 69B1B03E
	v_accvgpr_read_b32 v8, a36                                 // 000000006990: D3D84008 18000124
	v_accvgpr_read_b32 v9, a37                                 // 000000006998: D3D84009 18000125
	v_accvgpr_read_b32 v10, a38                                // 0000000069A0: D3D8400A 18000126
	v_accvgpr_read_b32 v11, a39                                // 0000000069A8: D3D8400B 18000127
	v_accvgpr_read_b32 v12, a44                                // 0000000069B0: D3D8400C 1800012C
	v_accvgpr_read_b32 v13, a45                                // 0000000069B8: D3D8400D 1800012D
	v_accvgpr_read_b32 v14, a46                                // 0000000069C0: D3D8400E 1800012E
	v_accvgpr_read_b32 v15, a47                                // 0000000069C8: D3D8400F 1800012F
	v_cvt_pk_bf16_f32 v16, v8, v9                              // 0000000069D0: D2680010 00021308
	v_cvt_pk_bf16_f32 v17, v10, v11                            // 0000000069D8: D2680011 0002170A
	v_cvt_pk_bf16_f32 v18, v12, v13                            // 0000000069E0: D2680012 00021B0C
	v_cvt_pk_bf16_f32 v19, v14, v15                            // 0000000069E8: D2680013 00021F0E
	s_nop 1                                                    // 0000000069F0: BF800001
	v_permlane16_swap_b32_e32 v16, v18                         // 0000000069F4: 7E20B312
	s_nop 1                                                    // 0000000069F8: BF800001
	v_permlane16_swap_b32_e32 v17, v19                         // 0000000069FC: 7E22B313
	s_nop 1                                                    // 000000006A00: BF800001
	buffer_store_dwordx4 v[16:19], v216, s[4:7], 0 offen       // 000000006A04: E07C1000 800110D8
	v_add_u32_e32 v216, s62, v216                              // 000000006A0C: 69B1B03E
	v_accvgpr_read_b32 v8, a48                                 // 000000006A10: D3D84008 18000130
	v_accvgpr_read_b32 v9, a49                                 // 000000006A18: D3D84009 18000131
	v_accvgpr_read_b32 v10, a50                                // 000000006A20: D3D8400A 18000132
	v_accvgpr_read_b32 v11, a51                                // 000000006A28: D3D8400B 18000133
	v_accvgpr_read_b32 v12, a56                                // 000000006A30: D3D8400C 18000138
	v_accvgpr_read_b32 v13, a57                                // 000000006A38: D3D8400D 18000139
	v_accvgpr_read_b32 v14, a58                                // 000000006A40: D3D8400E 1800013A
	v_accvgpr_read_b32 v15, a59                                // 000000006A48: D3D8400F 1800013B
	v_cvt_pk_bf16_f32 v16, v8, v9                              // 000000006A50: D2680010 00021308
	v_cvt_pk_bf16_f32 v17, v10, v11                            // 000000006A58: D2680011 0002170A
	v_cvt_pk_bf16_f32 v18, v12, v13                            // 000000006A60: D2680012 00021B0C
	v_cvt_pk_bf16_f32 v19, v14, v15                            // 000000006A68: D2680013 00021F0E
	s_nop 1                                                    // 000000006A70: BF800001
	v_permlane16_swap_b32_e32 v16, v18                         // 000000006A74: 7E20B312
	s_nop 1                                                    // 000000006A78: BF800001
	v_permlane16_swap_b32_e32 v17, v19                         // 000000006A7C: 7E22B313
	s_nop 1                                                    // 000000006A80: BF800001
	buffer_store_dwordx4 v[16:19], v216, s[4:7], 0 offen       // 000000006A84: E07C1000 800110D8
	v_add_u32_e32 v216, s62, v216                              // 000000006A8C: 69B1B03E
	v_accvgpr_read_b32 v8, a52                                 // 000000006A90: D3D84008 18000134
	v_accvgpr_read_b32 v9, a53                                 // 000000006A98: D3D84009 18000135
	v_accvgpr_read_b32 v10, a54                                // 000000006AA0: D3D8400A 18000136
	v_accvgpr_read_b32 v11, a55                                // 000000006AA8: D3D8400B 18000137
	v_accvgpr_read_b32 v12, a60                                // 000000006AB0: D3D8400C 1800013C
	v_accvgpr_read_b32 v13, a61                                // 000000006AB8: D3D8400D 1800013D
	v_accvgpr_read_b32 v14, a62                                // 000000006AC0: D3D8400E 1800013E
	v_accvgpr_read_b32 v15, a63                                // 000000006AC8: D3D8400F 1800013F
	v_cvt_pk_bf16_f32 v16, v8, v9                              // 000000006AD0: D2680010 00021308
	v_cvt_pk_bf16_f32 v17, v10, v11                            // 000000006AD8: D2680011 0002170A
	v_cvt_pk_bf16_f32 v18, v12, v13                            // 000000006AE0: D2680012 00021B0C
	v_cvt_pk_bf16_f32 v19, v14, v15                            // 000000006AE8: D2680013 00021F0E
	s_nop 1                                                    // 000000006AF0: BF800001
	v_permlane16_swap_b32_e32 v16, v18                         // 000000006AF4: 7E20B312
	s_nop 1                                                    // 000000006AF8: BF800001
	v_permlane16_swap_b32_e32 v17, v19                         // 000000006AFC: 7E22B313
	s_nop 1                                                    // 000000006B00: BF800001
	buffer_store_dwordx4 v[16:19], v216, s[4:7], 0 offen       // 000000006B04: E07C1000 800110D8
	v_add_u32_e32 v216, s62, v216                              // 000000006B0C: 69B1B03E
	v_accvgpr_read_b32 v8, a64                                 // 000000006B10: D3D84008 18000140
	v_accvgpr_read_b32 v9, a65                                 // 000000006B18: D3D84009 18000141
	v_accvgpr_read_b32 v10, a66                                // 000000006B20: D3D8400A 18000142
	v_accvgpr_read_b32 v11, a67                                // 000000006B28: D3D8400B 18000143
	v_accvgpr_read_b32 v12, a72                                // 000000006B30: D3D8400C 18000148
	v_accvgpr_read_b32 v13, a73                                // 000000006B38: D3D8400D 18000149
	v_accvgpr_read_b32 v14, a74                                // 000000006B40: D3D8400E 1800014A
	v_accvgpr_read_b32 v15, a75                                // 000000006B48: D3D8400F 1800014B
	v_cvt_pk_bf16_f32 v16, v8, v9                              // 000000006B50: D2680010 00021308
	v_cvt_pk_bf16_f32 v17, v10, v11                            // 000000006B58: D2680011 0002170A
	v_cvt_pk_bf16_f32 v18, v12, v13                            // 000000006B60: D2680012 00021B0C
	v_cvt_pk_bf16_f32 v19, v14, v15                            // 000000006B68: D2680013 00021F0E
	s_nop 1                                                    // 000000006B70: BF800001
	v_permlane16_swap_b32_e32 v16, v18                         // 000000006B74: 7E20B312
	s_nop 1                                                    // 000000006B78: BF800001
	v_permlane16_swap_b32_e32 v17, v19                         // 000000006B7C: 7E22B313
	s_nop 1                                                    // 000000006B80: BF800001
	buffer_store_dwordx4 v[16:19], v216, s[4:7], 0 offen       // 000000006B84: E07C1000 800110D8
	v_add_u32_e32 v216, s62, v216                              // 000000006B8C: 69B1B03E
	v_accvgpr_read_b32 v8, a68                                 // 000000006B90: D3D84008 18000144
	v_accvgpr_read_b32 v9, a69                                 // 000000006B98: D3D84009 18000145
	v_accvgpr_read_b32 v10, a70                                // 000000006BA0: D3D8400A 18000146
	v_accvgpr_read_b32 v11, a71                                // 000000006BA8: D3D8400B 18000147
	v_accvgpr_read_b32 v12, a76                                // 000000006BB0: D3D8400C 1800014C
	v_accvgpr_read_b32 v13, a77                                // 000000006BB8: D3D8400D 1800014D
	v_accvgpr_read_b32 v14, a78                                // 000000006BC0: D3D8400E 1800014E
	v_accvgpr_read_b32 v15, a79                                // 000000006BC8: D3D8400F 1800014F
	v_cvt_pk_bf16_f32 v16, v8, v9                              // 000000006BD0: D2680010 00021308
	v_cvt_pk_bf16_f32 v17, v10, v11                            // 000000006BD8: D2680011 0002170A
	v_cvt_pk_bf16_f32 v18, v12, v13                            // 000000006BE0: D2680012 00021B0C
	v_cvt_pk_bf16_f32 v19, v14, v15                            // 000000006BE8: D2680013 00021F0E
	s_nop 1                                                    // 000000006BF0: BF800001
	v_permlane16_swap_b32_e32 v16, v18                         // 000000006BF4: 7E20B312
	s_nop 1                                                    // 000000006BF8: BF800001
	v_permlane16_swap_b32_e32 v17, v19                         // 000000006BFC: 7E22B313
	s_nop 1                                                    // 000000006C00: BF800001
	buffer_store_dwordx4 v[16:19], v216, s[4:7], 0 offen       // 000000006C04: E07C1000 800110D8
	v_add_u32_e32 v216, s62, v216                              // 000000006C0C: 69B1B03E
	v_accvgpr_read_b32 v8, a80                                 // 000000006C10: D3D84008 18000150
	v_accvgpr_read_b32 v9, a81                                 // 000000006C18: D3D84009 18000151
	v_accvgpr_read_b32 v10, a82                                // 000000006C20: D3D8400A 18000152
	v_accvgpr_read_b32 v11, a83                                // 000000006C28: D3D8400B 18000153
	v_accvgpr_read_b32 v12, a88                                // 000000006C30: D3D8400C 18000158
	v_accvgpr_read_b32 v13, a89                                // 000000006C38: D3D8400D 18000159
	v_accvgpr_read_b32 v14, a90                                // 000000006C40: D3D8400E 1800015A
	v_accvgpr_read_b32 v15, a91                                // 000000006C48: D3D8400F 1800015B
	v_cvt_pk_bf16_f32 v16, v8, v9                              // 000000006C50: D2680010 00021308
	v_cvt_pk_bf16_f32 v17, v10, v11                            // 000000006C58: D2680011 0002170A
	v_cvt_pk_bf16_f32 v18, v12, v13                            // 000000006C60: D2680012 00021B0C
	v_cvt_pk_bf16_f32 v19, v14, v15                            // 000000006C68: D2680013 00021F0E
	s_nop 1                                                    // 000000006C70: BF800001
	v_permlane16_swap_b32_e32 v16, v18                         // 000000006C74: 7E20B312
	s_nop 1                                                    // 000000006C78: BF800001
	v_permlane16_swap_b32_e32 v17, v19                         // 000000006C7C: 7E22B313
	s_nop 1                                                    // 000000006C80: BF800001
	buffer_store_dwordx4 v[16:19], v216, s[4:7], 0 offen       // 000000006C84: E07C1000 800110D8
	v_add_u32_e32 v216, s62, v216                              // 000000006C8C: 69B1B03E
	v_accvgpr_read_b32 v8, a84                                 // 000000006C90: D3D84008 18000154
	v_accvgpr_read_b32 v9, a85                                 // 000000006C98: D3D84009 18000155
	v_accvgpr_read_b32 v10, a86                                // 000000006CA0: D3D8400A 18000156
	v_accvgpr_read_b32 v11, a87                                // 000000006CA8: D3D8400B 18000157
	v_accvgpr_read_b32 v12, a92                                // 000000006CB0: D3D8400C 1800015C
	v_accvgpr_read_b32 v13, a93                                // 000000006CB8: D3D8400D 1800015D
	v_accvgpr_read_b32 v14, a94                                // 000000006CC0: D3D8400E 1800015E
	v_accvgpr_read_b32 v15, a95                                // 000000006CC8: D3D8400F 1800015F
	v_cvt_pk_bf16_f32 v16, v8, v9                              // 000000006CD0: D2680010 00021308
	v_cvt_pk_bf16_f32 v17, v10, v11                            // 000000006CD8: D2680011 0002170A
	v_cvt_pk_bf16_f32 v18, v12, v13                            // 000000006CE0: D2680012 00021B0C
	v_cvt_pk_bf16_f32 v19, v14, v15                            // 000000006CE8: D2680013 00021F0E
	s_nop 1                                                    // 000000006CF0: BF800001
	v_permlane16_swap_b32_e32 v16, v18                         // 000000006CF4: 7E20B312
	s_nop 1                                                    // 000000006CF8: BF800001
	v_permlane16_swap_b32_e32 v17, v19                         // 000000006CFC: 7E22B313
	s_nop 1                                                    // 000000006D00: BF800001
	buffer_store_dwordx4 v[16:19], v216, s[4:7], 0 offen       // 000000006D04: E07C1000 800110D8
	v_add_u32_e32 v216, s62, v216                              // 000000006D0C: 69B1B03E
	v_accvgpr_read_b32 v8, a96                                 // 000000006D10: D3D84008 18000160
	v_accvgpr_read_b32 v9, a97                                 // 000000006D18: D3D84009 18000161
	v_accvgpr_read_b32 v10, a98                                // 000000006D20: D3D8400A 18000162
	v_accvgpr_read_b32 v11, a99                                // 000000006D28: D3D8400B 18000163
	v_accvgpr_read_b32 v12, a104                               // 000000006D30: D3D8400C 18000168
	v_accvgpr_read_b32 v13, a105                               // 000000006D38: D3D8400D 18000169
	v_accvgpr_read_b32 v14, a106                               // 000000006D40: D3D8400E 1800016A
	v_accvgpr_read_b32 v15, a107                               // 000000006D48: D3D8400F 1800016B
	v_cvt_pk_bf16_f32 v16, v8, v9                              // 000000006D50: D2680010 00021308
	v_cvt_pk_bf16_f32 v17, v10, v11                            // 000000006D58: D2680011 0002170A
	v_cvt_pk_bf16_f32 v18, v12, v13                            // 000000006D60: D2680012 00021B0C
	v_cvt_pk_bf16_f32 v19, v14, v15                            // 000000006D68: D2680013 00021F0E
	s_nop 1                                                    // 000000006D70: BF800001
	v_permlane16_swap_b32_e32 v16, v18                         // 000000006D74: 7E20B312
	s_nop 1                                                    // 000000006D78: BF800001
	v_permlane16_swap_b32_e32 v17, v19                         // 000000006D7C: 7E22B313
	s_nop 1                                                    // 000000006D80: BF800001
	buffer_store_dwordx4 v[16:19], v216, s[4:7], 0 offen       // 000000006D84: E07C1000 800110D8
	v_add_u32_e32 v216, s62, v216                              // 000000006D8C: 69B1B03E
	v_accvgpr_read_b32 v8, a100                                // 000000006D90: D3D84008 18000164
	v_accvgpr_read_b32 v9, a101                                // 000000006D98: D3D84009 18000165
	v_accvgpr_read_b32 v10, a102                               // 000000006DA0: D3D8400A 18000166
	v_accvgpr_read_b32 v11, a103                               // 000000006DA8: D3D8400B 18000167
	v_accvgpr_read_b32 v12, a108                               // 000000006DB0: D3D8400C 1800016C
	v_accvgpr_read_b32 v13, a109                               // 000000006DB8: D3D8400D 1800016D
	v_accvgpr_read_b32 v14, a110                               // 000000006DC0: D3D8400E 1800016E
	v_accvgpr_read_b32 v15, a111                               // 000000006DC8: D3D8400F 1800016F
	v_cvt_pk_bf16_f32 v16, v8, v9                              // 000000006DD0: D2680010 00021308
	v_cvt_pk_bf16_f32 v17, v10, v11                            // 000000006DD8: D2680011 0002170A
	v_cvt_pk_bf16_f32 v18, v12, v13                            // 000000006DE0: D2680012 00021B0C
	v_cvt_pk_bf16_f32 v19, v14, v15                            // 000000006DE8: D2680013 00021F0E
	s_nop 1                                                    // 000000006DF0: BF800001
	v_permlane16_swap_b32_e32 v16, v18                         // 000000006DF4: 7E20B312
	s_nop 1                                                    // 000000006DF8: BF800001
	v_permlane16_swap_b32_e32 v17, v19                         // 000000006DFC: 7E22B313
	s_nop 1                                                    // 000000006E00: BF800001
	buffer_store_dwordx4 v[16:19], v216, s[4:7], 0 offen       // 000000006E04: E07C1000 800110D8
	v_add_u32_e32 v216, s62, v216                              // 000000006E0C: 69B1B03E
	s_branch label_124A                                        // 000000006E10: BF8201C5

0000000000006e14 <label_1085>:
	s_mul_i32 s62, s36, 16                                     // 000000006E14: 923E9024
	s_cmp_lt_i32 s60, s44                                      // 000000006E18: BF042C3C
	s_cbranch_scc0 label_124A                                  // 000000006E1C: BF8401C2
	s_addk_i32 s60, 0x20                                       // 000000006E20: B73C0020
	v_add_u32_e32 v216, 0, v212                                // 000000006E24: 69B1A880
	v_accvgpr_read_b32 v8, a0                                  // 000000006E28: D3D84008 18000100
	v_accvgpr_read_b32 v9, a1                                  // 000000006E30: D3D84009 18000101
	v_accvgpr_read_b32 v10, a2                                 // 000000006E38: D3D8400A 18000102
	v_accvgpr_read_b32 v11, a3                                 // 000000006E40: D3D8400B 18000103
	v_accvgpr_read_b32 v12, a8                                 // 000000006E48: D3D8400C 18000108
	v_accvgpr_read_b32 v13, a9                                 // 000000006E50: D3D8400D 18000109
	v_accvgpr_read_b32 v14, a10                                // 000000006E58: D3D8400E 1800010A
	v_accvgpr_read_b32 v15, a11                                // 000000006E60: D3D8400F 1800010B
	v_cvt_pk_bf16_f32 v16, v8, v9                              // 000000006E68: D2680010 00021308
	v_cvt_pk_bf16_f32 v17, v10, v11                            // 000000006E70: D2680011 0002170A
	v_cvt_pk_bf16_f32 v18, v12, v13                            // 000000006E78: D2680012 00021B0C
	v_cvt_pk_bf16_f32 v19, v14, v15                            // 000000006E80: D2680013 00021F0E
	s_nop 1                                                    // 000000006E88: BF800001
	v_permlane16_swap_b32_e32 v16, v18                         // 000000006E8C: 7E20B312
	s_nop 1                                                    // 000000006E90: BF800001
	v_permlane16_swap_b32_e32 v17, v19                         // 000000006E94: 7E22B313
	s_nop 1                                                    // 000000006E98: BF800001
	buffer_store_dwordx4 v[16:19], v216, s[4:7], 0 offen       // 000000006E9C: E07C1000 800110D8
	v_add_u32_e32 v216, s62, v216                              // 000000006EA4: 69B1B03E
	v_accvgpr_read_b32 v8, a4                                  // 000000006EA8: D3D84008 18000104
	v_accvgpr_read_b32 v9, a5                                  // 000000006EB0: D3D84009 18000105
	v_accvgpr_read_b32 v10, a6                                 // 000000006EB8: D3D8400A 18000106
	v_accvgpr_read_b32 v11, a7                                 // 000000006EC0: D3D8400B 18000107
	v_accvgpr_read_b32 v12, a12                                // 000000006EC8: D3D8400C 1800010C
	v_accvgpr_read_b32 v13, a13                                // 000000006ED0: D3D8400D 1800010D
	v_accvgpr_read_b32 v14, a14                                // 000000006ED8: D3D8400E 1800010E
	v_accvgpr_read_b32 v15, a15                                // 000000006EE0: D3D8400F 1800010F
	v_cvt_pk_bf16_f32 v16, v8, v9                              // 000000006EE8: D2680010 00021308
	v_cvt_pk_bf16_f32 v17, v10, v11                            // 000000006EF0: D2680011 0002170A
	v_cvt_pk_bf16_f32 v18, v12, v13                            // 000000006EF8: D2680012 00021B0C
	v_cvt_pk_bf16_f32 v19, v14, v15                            // 000000006F00: D2680013 00021F0E
	s_nop 1                                                    // 000000006F08: BF800001
	v_permlane16_swap_b32_e32 v16, v18                         // 000000006F0C: 7E20B312
	s_nop 1                                                    // 000000006F10: BF800001
	v_permlane16_swap_b32_e32 v17, v19                         // 000000006F14: 7E22B313
	s_nop 1                                                    // 000000006F18: BF800001
	buffer_store_dwordx4 v[16:19], v216, s[4:7], 0 offen       // 000000006F1C: E07C1000 800110D8
	v_add_u32_e32 v216, s62, v216                              // 000000006F24: 69B1B03E
	v_accvgpr_read_b32 v8, a16                                 // 000000006F28: D3D84008 18000110
	v_accvgpr_read_b32 v9, a17                                 // 000000006F30: D3D84009 18000111
	v_accvgpr_read_b32 v10, a18                                // 000000006F38: D3D8400A 18000112
	v_accvgpr_read_b32 v11, a19                                // 000000006F40: D3D8400B 18000113
	v_accvgpr_read_b32 v12, a24                                // 000000006F48: D3D8400C 18000118
	v_accvgpr_read_b32 v13, a25                                // 000000006F50: D3D8400D 18000119
	v_accvgpr_read_b32 v14, a26                                // 000000006F58: D3D8400E 1800011A
	v_accvgpr_read_b32 v15, a27                                // 000000006F60: D3D8400F 1800011B
	v_cvt_pk_bf16_f32 v16, v8, v9                              // 000000006F68: D2680010 00021308
	v_cvt_pk_bf16_f32 v17, v10, v11                            // 000000006F70: D2680011 0002170A
	v_cvt_pk_bf16_f32 v18, v12, v13                            // 000000006F78: D2680012 00021B0C
	v_cvt_pk_bf16_f32 v19, v14, v15                            // 000000006F80: D2680013 00021F0E
	s_nop 1                                                    // 000000006F88: BF800001
	v_permlane16_swap_b32_e32 v16, v18                         // 000000006F8C: 7E20B312
	s_nop 1                                                    // 000000006F90: BF800001
	v_permlane16_swap_b32_e32 v17, v19                         // 000000006F94: 7E22B313
	s_nop 1                                                    // 000000006F98: BF800001
	buffer_store_dwordx4 v[16:19], v216, s[4:7], 0 offen       // 000000006F9C: E07C1000 800110D8
	v_add_u32_e32 v216, s62, v216                              // 000000006FA4: 69B1B03E
	v_accvgpr_read_b32 v8, a20                                 // 000000006FA8: D3D84008 18000114
	v_accvgpr_read_b32 v9, a21                                 // 000000006FB0: D3D84009 18000115
	v_accvgpr_read_b32 v10, a22                                // 000000006FB8: D3D8400A 18000116
	v_accvgpr_read_b32 v11, a23                                // 000000006FC0: D3D8400B 18000117
	v_accvgpr_read_b32 v12, a28                                // 000000006FC8: D3D8400C 1800011C
	v_accvgpr_read_b32 v13, a29                                // 000000006FD0: D3D8400D 1800011D
	v_accvgpr_read_b32 v14, a30                                // 000000006FD8: D3D8400E 1800011E
	v_accvgpr_read_b32 v15, a31                                // 000000006FE0: D3D8400F 1800011F
	v_cvt_pk_bf16_f32 v16, v8, v9                              // 000000006FE8: D2680010 00021308
	v_cvt_pk_bf16_f32 v17, v10, v11                            // 000000006FF0: D2680011 0002170A
	v_cvt_pk_bf16_f32 v18, v12, v13                            // 000000006FF8: D2680012 00021B0C
	v_cvt_pk_bf16_f32 v19, v14, v15                            // 000000007000: D2680013 00021F0E
	s_nop 1                                                    // 000000007008: BF800001
	v_permlane16_swap_b32_e32 v16, v18                         // 00000000700C: 7E20B312
	s_nop 1                                                    // 000000007010: BF800001
	v_permlane16_swap_b32_e32 v17, v19                         // 000000007014: 7E22B313
	s_nop 1                                                    // 000000007018: BF800001
	buffer_store_dwordx4 v[16:19], v216, s[4:7], 0 offen       // 00000000701C: E07C1000 800110D8
	v_add_u32_e32 v216, s62, v216                              // 000000007024: 69B1B03E
	v_accvgpr_read_b32 v8, a32                                 // 000000007028: D3D84008 18000120
	v_accvgpr_read_b32 v9, a33                                 // 000000007030: D3D84009 18000121
	v_accvgpr_read_b32 v10, a34                                // 000000007038: D3D8400A 18000122
	v_accvgpr_read_b32 v11, a35                                // 000000007040: D3D8400B 18000123
	v_accvgpr_read_b32 v12, a40                                // 000000007048: D3D8400C 18000128
	v_accvgpr_read_b32 v13, a41                                // 000000007050: D3D8400D 18000129
	v_accvgpr_read_b32 v14, a42                                // 000000007058: D3D8400E 1800012A
	v_accvgpr_read_b32 v15, a43                                // 000000007060: D3D8400F 1800012B
	v_cvt_pk_bf16_f32 v16, v8, v9                              // 000000007068: D2680010 00021308
	v_cvt_pk_bf16_f32 v17, v10, v11                            // 000000007070: D2680011 0002170A
	v_cvt_pk_bf16_f32 v18, v12, v13                            // 000000007078: D2680012 00021B0C
	v_cvt_pk_bf16_f32 v19, v14, v15                            // 000000007080: D2680013 00021F0E
	s_nop 1                                                    // 000000007088: BF800001
	v_permlane16_swap_b32_e32 v16, v18                         // 00000000708C: 7E20B312
	s_nop 1                                                    // 000000007090: BF800001
	v_permlane16_swap_b32_e32 v17, v19                         // 000000007094: 7E22B313
	s_nop 1                                                    // 000000007098: BF800001
	buffer_store_dwordx4 v[16:19], v216, s[4:7], 0 offen       // 00000000709C: E07C1000 800110D8
	v_add_u32_e32 v216, s62, v216                              // 0000000070A4: 69B1B03E
	v_accvgpr_read_b32 v8, a36                                 // 0000000070A8: D3D84008 18000124
	v_accvgpr_read_b32 v9, a37                                 // 0000000070B0: D3D84009 18000125
	v_accvgpr_read_b32 v10, a38                                // 0000000070B8: D3D8400A 18000126
	v_accvgpr_read_b32 v11, a39                                // 0000000070C0: D3D8400B 18000127
	v_accvgpr_read_b32 v12, a44                                // 0000000070C8: D3D8400C 1800012C
	v_accvgpr_read_b32 v13, a45                                // 0000000070D0: D3D8400D 1800012D
	v_accvgpr_read_b32 v14, a46                                // 0000000070D8: D3D8400E 1800012E
	v_accvgpr_read_b32 v15, a47                                // 0000000070E0: D3D8400F 1800012F
	v_cvt_pk_bf16_f32 v16, v8, v9                              // 0000000070E8: D2680010 00021308
	v_cvt_pk_bf16_f32 v17, v10, v11                            // 0000000070F0: D2680011 0002170A
	v_cvt_pk_bf16_f32 v18, v12, v13                            // 0000000070F8: D2680012 00021B0C
	v_cvt_pk_bf16_f32 v19, v14, v15                            // 000000007100: D2680013 00021F0E
	s_nop 1                                                    // 000000007108: BF800001
	v_permlane16_swap_b32_e32 v16, v18                         // 00000000710C: 7E20B312
	s_nop 1                                                    // 000000007110: BF800001
	v_permlane16_swap_b32_e32 v17, v19                         // 000000007114: 7E22B313
	s_nop 1                                                    // 000000007118: BF800001
	buffer_store_dwordx4 v[16:19], v216, s[4:7], 0 offen       // 00000000711C: E07C1000 800110D8
	v_add_u32_e32 v216, s62, v216                              // 000000007124: 69B1B03E
	v_accvgpr_read_b32 v8, a48                                 // 000000007128: D3D84008 18000130
	v_accvgpr_read_b32 v9, a49                                 // 000000007130: D3D84009 18000131
	v_accvgpr_read_b32 v10, a50                                // 000000007138: D3D8400A 18000132
	v_accvgpr_read_b32 v11, a51                                // 000000007140: D3D8400B 18000133
	v_accvgpr_read_b32 v12, a56                                // 000000007148: D3D8400C 18000138
	v_accvgpr_read_b32 v13, a57                                // 000000007150: D3D8400D 18000139
	v_accvgpr_read_b32 v14, a58                                // 000000007158: D3D8400E 1800013A
	v_accvgpr_read_b32 v15, a59                                // 000000007160: D3D8400F 1800013B
	v_cvt_pk_bf16_f32 v16, v8, v9                              // 000000007168: D2680010 00021308
	v_cvt_pk_bf16_f32 v17, v10, v11                            // 000000007170: D2680011 0002170A
	v_cvt_pk_bf16_f32 v18, v12, v13                            // 000000007178: D2680012 00021B0C
	v_cvt_pk_bf16_f32 v19, v14, v15                            // 000000007180: D2680013 00021F0E
	s_nop 1                                                    // 000000007188: BF800001
	v_permlane16_swap_b32_e32 v16, v18                         // 00000000718C: 7E20B312
	s_nop 1                                                    // 000000007190: BF800001
	v_permlane16_swap_b32_e32 v17, v19                         // 000000007194: 7E22B313
	s_nop 1                                                    // 000000007198: BF800001
	buffer_store_dwordx4 v[16:19], v216, s[4:7], 0 offen       // 00000000719C: E07C1000 800110D8
	v_add_u32_e32 v216, s62, v216                              // 0000000071A4: 69B1B03E
	v_accvgpr_read_b32 v8, a52                                 // 0000000071A8: D3D84008 18000134
	v_accvgpr_read_b32 v9, a53                                 // 0000000071B0: D3D84009 18000135
	v_accvgpr_read_b32 v10, a54                                // 0000000071B8: D3D8400A 18000136
	v_accvgpr_read_b32 v11, a55                                // 0000000071C0: D3D8400B 18000137
	v_accvgpr_read_b32 v12, a60                                // 0000000071C8: D3D8400C 1800013C
	v_accvgpr_read_b32 v13, a61                                // 0000000071D0: D3D8400D 1800013D
	v_accvgpr_read_b32 v14, a62                                // 0000000071D8: D3D8400E 1800013E
	v_accvgpr_read_b32 v15, a63                                // 0000000071E0: D3D8400F 1800013F
	v_cvt_pk_bf16_f32 v16, v8, v9                              // 0000000071E8: D2680010 00021308
	v_cvt_pk_bf16_f32 v17, v10, v11                            // 0000000071F0: D2680011 0002170A
	v_cvt_pk_bf16_f32 v18, v12, v13                            // 0000000071F8: D2680012 00021B0C
	v_cvt_pk_bf16_f32 v19, v14, v15                            // 000000007200: D2680013 00021F0E
	s_nop 1                                                    // 000000007208: BF800001
	v_permlane16_swap_b32_e32 v16, v18                         // 00000000720C: 7E20B312
	s_nop 1                                                    // 000000007210: BF800001
	v_permlane16_swap_b32_e32 v17, v19                         // 000000007214: 7E22B313
	s_nop 1                                                    // 000000007218: BF800001
	buffer_store_dwordx4 v[16:19], v216, s[4:7], 0 offen       // 00000000721C: E07C1000 800110D8
	v_add_u32_e32 v216, s62, v216                              // 000000007224: 69B1B03E
	v_accvgpr_read_b32 v8, a64                                 // 000000007228: D3D84008 18000140
	v_accvgpr_read_b32 v9, a65                                 // 000000007230: D3D84009 18000141
	v_accvgpr_read_b32 v10, a66                                // 000000007238: D3D8400A 18000142
	v_accvgpr_read_b32 v11, a67                                // 000000007240: D3D8400B 18000143
	v_accvgpr_read_b32 v12, a72                                // 000000007248: D3D8400C 18000148
	v_accvgpr_read_b32 v13, a73                                // 000000007250: D3D8400D 18000149
	v_accvgpr_read_b32 v14, a74                                // 000000007258: D3D8400E 1800014A
	v_accvgpr_read_b32 v15, a75                                // 000000007260: D3D8400F 1800014B
	v_cvt_pk_bf16_f32 v16, v8, v9                              // 000000007268: D2680010 00021308
	v_cvt_pk_bf16_f32 v17, v10, v11                            // 000000007270: D2680011 0002170A
	v_cvt_pk_bf16_f32 v18, v12, v13                            // 000000007278: D2680012 00021B0C
	v_cvt_pk_bf16_f32 v19, v14, v15                            // 000000007280: D2680013 00021F0E
	s_nop 1                                                    // 000000007288: BF800001
	v_permlane16_swap_b32_e32 v16, v18                         // 00000000728C: 7E20B312
	s_nop 1                                                    // 000000007290: BF800001
	v_permlane16_swap_b32_e32 v17, v19                         // 000000007294: 7E22B313
	s_nop 1                                                    // 000000007298: BF800001
	buffer_store_dwordx4 v[16:19], v216, s[4:7], 0 offen       // 00000000729C: E07C1000 800110D8
	v_add_u32_e32 v216, s62, v216                              // 0000000072A4: 69B1B03E
	v_accvgpr_read_b32 v8, a68                                 // 0000000072A8: D3D84008 18000144
	v_accvgpr_read_b32 v9, a69                                 // 0000000072B0: D3D84009 18000145
	v_accvgpr_read_b32 v10, a70                                // 0000000072B8: D3D8400A 18000146
	v_accvgpr_read_b32 v11, a71                                // 0000000072C0: D3D8400B 18000147
	v_accvgpr_read_b32 v12, a76                                // 0000000072C8: D3D8400C 1800014C
	v_accvgpr_read_b32 v13, a77                                // 0000000072D0: D3D8400D 1800014D
	v_accvgpr_read_b32 v14, a78                                // 0000000072D8: D3D8400E 1800014E
	v_accvgpr_read_b32 v15, a79                                // 0000000072E0: D3D8400F 1800014F
	v_cvt_pk_bf16_f32 v16, v8, v9                              // 0000000072E8: D2680010 00021308
	v_cvt_pk_bf16_f32 v17, v10, v11                            // 0000000072F0: D2680011 0002170A
	v_cvt_pk_bf16_f32 v18, v12, v13                            // 0000000072F8: D2680012 00021B0C
	v_cvt_pk_bf16_f32 v19, v14, v15                            // 000000007300: D2680013 00021F0E
	s_nop 1                                                    // 000000007308: BF800001
	v_permlane16_swap_b32_e32 v16, v18                         // 00000000730C: 7E20B312
	s_nop 1                                                    // 000000007310: BF800001
	v_permlane16_swap_b32_e32 v17, v19                         // 000000007314: 7E22B313
	s_nop 1                                                    // 000000007318: BF800001
	buffer_store_dwordx4 v[16:19], v216, s[4:7], 0 offen       // 00000000731C: E07C1000 800110D8
	v_add_u32_e32 v216, s62, v216                              // 000000007324: 69B1B03E
	v_accvgpr_read_b32 v8, a80                                 // 000000007328: D3D84008 18000150
	v_accvgpr_read_b32 v9, a81                                 // 000000007330: D3D84009 18000151
	v_accvgpr_read_b32 v10, a82                                // 000000007338: D3D8400A 18000152
	v_accvgpr_read_b32 v11, a83                                // 000000007340: D3D8400B 18000153
	v_accvgpr_read_b32 v12, a88                                // 000000007348: D3D8400C 18000158
	v_accvgpr_read_b32 v13, a89                                // 000000007350: D3D8400D 18000159
	v_accvgpr_read_b32 v14, a90                                // 000000007358: D3D8400E 1800015A
	v_accvgpr_read_b32 v15, a91                                // 000000007360: D3D8400F 1800015B
	v_cvt_pk_bf16_f32 v16, v8, v9                              // 000000007368: D2680010 00021308
	v_cvt_pk_bf16_f32 v17, v10, v11                            // 000000007370: D2680011 0002170A
	v_cvt_pk_bf16_f32 v18, v12, v13                            // 000000007378: D2680012 00021B0C
	v_cvt_pk_bf16_f32 v19, v14, v15                            // 000000007380: D2680013 00021F0E
	s_nop 1                                                    // 000000007388: BF800001
	v_permlane16_swap_b32_e32 v16, v18                         // 00000000738C: 7E20B312
	s_nop 1                                                    // 000000007390: BF800001
	v_permlane16_swap_b32_e32 v17, v19                         // 000000007394: 7E22B313
	s_nop 1                                                    // 000000007398: BF800001
	buffer_store_dwordx4 v[16:19], v216, s[4:7], 0 offen       // 00000000739C: E07C1000 800110D8
	v_add_u32_e32 v216, s62, v216                              // 0000000073A4: 69B1B03E
	v_accvgpr_read_b32 v8, a84                                 // 0000000073A8: D3D84008 18000154
	v_accvgpr_read_b32 v9, a85                                 // 0000000073B0: D3D84009 18000155
	v_accvgpr_read_b32 v10, a86                                // 0000000073B8: D3D8400A 18000156
	v_accvgpr_read_b32 v11, a87                                // 0000000073C0: D3D8400B 18000157
	v_accvgpr_read_b32 v12, a92                                // 0000000073C8: D3D8400C 1800015C
	v_accvgpr_read_b32 v13, a93                                // 0000000073D0: D3D8400D 1800015D
	v_accvgpr_read_b32 v14, a94                                // 0000000073D8: D3D8400E 1800015E
	v_accvgpr_read_b32 v15, a95                                // 0000000073E0: D3D8400F 1800015F
	v_cvt_pk_bf16_f32 v16, v8, v9                              // 0000000073E8: D2680010 00021308
	v_cvt_pk_bf16_f32 v17, v10, v11                            // 0000000073F0: D2680011 0002170A
	v_cvt_pk_bf16_f32 v18, v12, v13                            // 0000000073F8: D2680012 00021B0C
	v_cvt_pk_bf16_f32 v19, v14, v15                            // 000000007400: D2680013 00021F0E
	s_nop 1                                                    // 000000007408: BF800001
	v_permlane16_swap_b32_e32 v16, v18                         // 00000000740C: 7E20B312
	s_nop 1                                                    // 000000007410: BF800001
	v_permlane16_swap_b32_e32 v17, v19                         // 000000007414: 7E22B313
	s_nop 1                                                    // 000000007418: BF800001
	buffer_store_dwordx4 v[16:19], v216, s[4:7], 0 offen       // 00000000741C: E07C1000 800110D8
	v_add_u32_e32 v216, s62, v216                              // 000000007424: 69B1B03E
	v_accvgpr_read_b32 v8, a96                                 // 000000007428: D3D84008 18000160
	v_accvgpr_read_b32 v9, a97                                 // 000000007430: D3D84009 18000161
	v_accvgpr_read_b32 v10, a98                                // 000000007438: D3D8400A 18000162
	v_accvgpr_read_b32 v11, a99                                // 000000007440: D3D8400B 18000163
	v_accvgpr_read_b32 v12, a104                               // 000000007448: D3D8400C 18000168
	v_accvgpr_read_b32 v13, a105                               // 000000007450: D3D8400D 18000169
	v_accvgpr_read_b32 v14, a106                               // 000000007458: D3D8400E 1800016A
	v_accvgpr_read_b32 v15, a107                               // 000000007460: D3D8400F 1800016B
	v_cvt_pk_bf16_f32 v16, v8, v9                              // 000000007468: D2680010 00021308
	v_cvt_pk_bf16_f32 v17, v10, v11                            // 000000007470: D2680011 0002170A
	v_cvt_pk_bf16_f32 v18, v12, v13                            // 000000007478: D2680012 00021B0C
	v_cvt_pk_bf16_f32 v19, v14, v15                            // 000000007480: D2680013 00021F0E
	s_nop 1                                                    // 000000007488: BF800001
	v_permlane16_swap_b32_e32 v16, v18                         // 00000000748C: 7E20B312
	s_nop 1                                                    // 000000007490: BF800001
	v_permlane16_swap_b32_e32 v17, v19                         // 000000007494: 7E22B313
	s_nop 1                                                    // 000000007498: BF800001
	buffer_store_dwordx4 v[16:19], v216, s[4:7], 0 offen       // 00000000749C: E07C1000 800110D8
	v_add_u32_e32 v216, s62, v216                              // 0000000074A4: 69B1B03E
	v_accvgpr_read_b32 v8, a100                                // 0000000074A8: D3D84008 18000164
	v_accvgpr_read_b32 v9, a101                                // 0000000074B0: D3D84009 18000165
	v_accvgpr_read_b32 v10, a102                               // 0000000074B8: D3D8400A 18000166
	v_accvgpr_read_b32 v11, a103                               // 0000000074C0: D3D8400B 18000167
	v_accvgpr_read_b32 v12, a108                               // 0000000074C8: D3D8400C 1800016C
	v_accvgpr_read_b32 v13, a109                               // 0000000074D0: D3D8400D 1800016D
	v_accvgpr_read_b32 v14, a110                               // 0000000074D8: D3D8400E 1800016E
	v_accvgpr_read_b32 v15, a111                               // 0000000074E0: D3D8400F 1800016F
	v_cvt_pk_bf16_f32 v16, v8, v9                              // 0000000074E8: D2680010 00021308
	v_cvt_pk_bf16_f32 v17, v10, v11                            // 0000000074F0: D2680011 0002170A
	v_cvt_pk_bf16_f32 v18, v12, v13                            // 0000000074F8: D2680012 00021B0C
	v_cvt_pk_bf16_f32 v19, v14, v15                            // 000000007500: D2680013 00021F0E
	s_nop 1                                                    // 000000007508: BF800001
	v_permlane16_swap_b32_e32 v16, v18                         // 00000000750C: 7E20B312
	s_nop 1                                                    // 000000007510: BF800001
	v_permlane16_swap_b32_e32 v17, v19                         // 000000007514: 7E22B313
	s_nop 1                                                    // 000000007518: BF800001
	buffer_store_dwordx4 v[16:19], v216, s[4:7], 0 offen       // 00000000751C: E07C1000 800110D8
	v_add_u32_e32 v216, s62, v216                              // 000000007524: 69B1B03E

0000000000007528 <label_124A>:
	s_waitcnt vmcnt(0) expcnt(0) lgkmcnt(0)                    // 000000007528: BF8C0000
	s_endpgm                                                   // 00000000752C: BF810000
